;; amdgpu-corpus repo=ROCm/rocFFT kind=compiled arch=gfx906 opt=O3
	.text
	.amdgcn_target "amdgcn-amd-amdhsa--gfx906"
	.amdhsa_code_object_version 6
	.protected	fft_rtc_back_len1512_factors_2_2_2_3_3_3_7_wgs_63_tpt_63_halfLds_dp_op_CI_CI_unitstride_sbrr_R2C_dirReg ; -- Begin function fft_rtc_back_len1512_factors_2_2_2_3_3_3_7_wgs_63_tpt_63_halfLds_dp_op_CI_CI_unitstride_sbrr_R2C_dirReg
	.globl	fft_rtc_back_len1512_factors_2_2_2_3_3_3_7_wgs_63_tpt_63_halfLds_dp_op_CI_CI_unitstride_sbrr_R2C_dirReg
	.p2align	8
	.type	fft_rtc_back_len1512_factors_2_2_2_3_3_3_7_wgs_63_tpt_63_halfLds_dp_op_CI_CI_unitstride_sbrr_R2C_dirReg,@function
fft_rtc_back_len1512_factors_2_2_2_3_3_3_7_wgs_63_tpt_63_halfLds_dp_op_CI_CI_unitstride_sbrr_R2C_dirReg: ; @fft_rtc_back_len1512_factors_2_2_2_3_3_3_7_wgs_63_tpt_63_halfLds_dp_op_CI_CI_unitstride_sbrr_R2C_dirReg
; %bb.0:
	s_load_dwordx4 s[8:11], s[4:5], 0x58
	s_load_dwordx4 s[12:15], s[4:5], 0x0
	;; [unrolled: 1-line block ×3, first 2 shown]
	v_mul_u32_u24_e32 v1, 0x411, v0
	v_add_u32_sdwa v5, s6, v1 dst_sel:DWORD dst_unused:UNUSED_PAD src0_sel:DWORD src1_sel:WORD_1
	v_mov_b32_e32 v3, 0
	s_waitcnt lgkmcnt(0)
	v_cmp_lt_u64_e64 s[0:1], s[14:15], 2
	v_mov_b32_e32 v1, 0
	v_mov_b32_e32 v6, v3
	s_and_b64 vcc, exec, s[0:1]
	v_mov_b32_e32 v2, 0
	s_cbranch_vccnz .LBB0_8
; %bb.1:
	s_load_dwordx2 s[0:1], s[4:5], 0x10
	s_add_u32 s2, s18, 8
	s_addc_u32 s3, s19, 0
	s_add_u32 s6, s16, 8
	v_mov_b32_e32 v1, 0
	s_addc_u32 s7, s17, 0
	v_mov_b32_e32 v2, 0
	s_waitcnt lgkmcnt(0)
	s_add_u32 s20, s0, 8
	v_mov_b32_e32 v113, v2
	s_addc_u32 s21, s1, 0
	s_mov_b64 s[22:23], 1
	v_mov_b32_e32 v112, v1
.LBB0_2:                                ; =>This Inner Loop Header: Depth=1
	s_load_dwordx2 s[24:25], s[20:21], 0x0
                                        ; implicit-def: $vgpr116_vgpr117
	s_waitcnt lgkmcnt(0)
	v_or_b32_e32 v4, s25, v6
	v_cmp_ne_u64_e32 vcc, 0, v[3:4]
	s_and_saveexec_b64 s[0:1], vcc
	s_xor_b64 s[26:27], exec, s[0:1]
	s_cbranch_execz .LBB0_4
; %bb.3:                                ;   in Loop: Header=BB0_2 Depth=1
	v_cvt_f32_u32_e32 v4, s24
	v_cvt_f32_u32_e32 v7, s25
	s_sub_u32 s0, 0, s24
	s_subb_u32 s1, 0, s25
	v_mac_f32_e32 v4, 0x4f800000, v7
	v_rcp_f32_e32 v4, v4
	v_mul_f32_e32 v4, 0x5f7ffffc, v4
	v_mul_f32_e32 v7, 0x2f800000, v4
	v_trunc_f32_e32 v7, v7
	v_mac_f32_e32 v4, 0xcf800000, v7
	v_cvt_u32_f32_e32 v7, v7
	v_cvt_u32_f32_e32 v4, v4
	v_mul_lo_u32 v8, s0, v7
	v_mul_hi_u32 v9, s0, v4
	v_mul_lo_u32 v11, s1, v4
	v_mul_lo_u32 v10, s0, v4
	v_add_u32_e32 v8, v9, v8
	v_add_u32_e32 v8, v8, v11
	v_mul_hi_u32 v9, v4, v10
	v_mul_lo_u32 v11, v4, v8
	v_mul_hi_u32 v13, v4, v8
	v_mul_hi_u32 v12, v7, v10
	v_mul_lo_u32 v10, v7, v10
	v_mul_hi_u32 v14, v7, v8
	v_add_co_u32_e32 v9, vcc, v9, v11
	v_addc_co_u32_e32 v11, vcc, 0, v13, vcc
	v_mul_lo_u32 v8, v7, v8
	v_add_co_u32_e32 v9, vcc, v9, v10
	v_addc_co_u32_e32 v9, vcc, v11, v12, vcc
	v_addc_co_u32_e32 v10, vcc, 0, v14, vcc
	v_add_co_u32_e32 v8, vcc, v9, v8
	v_addc_co_u32_e32 v9, vcc, 0, v10, vcc
	v_add_co_u32_e32 v4, vcc, v4, v8
	v_addc_co_u32_e32 v7, vcc, v7, v9, vcc
	v_mul_lo_u32 v8, s0, v7
	v_mul_hi_u32 v9, s0, v4
	v_mul_lo_u32 v10, s1, v4
	v_mul_lo_u32 v11, s0, v4
	v_add_u32_e32 v8, v9, v8
	v_add_u32_e32 v8, v8, v10
	v_mul_lo_u32 v12, v4, v8
	v_mul_hi_u32 v13, v4, v11
	v_mul_hi_u32 v14, v4, v8
	v_mul_hi_u32 v10, v7, v11
	v_mul_lo_u32 v11, v7, v11
	v_mul_hi_u32 v9, v7, v8
	v_add_co_u32_e32 v12, vcc, v13, v12
	v_addc_co_u32_e32 v13, vcc, 0, v14, vcc
	v_mul_lo_u32 v8, v7, v8
	v_add_co_u32_e32 v11, vcc, v12, v11
	v_addc_co_u32_e32 v10, vcc, v13, v10, vcc
	v_addc_co_u32_e32 v9, vcc, 0, v9, vcc
	v_add_co_u32_e32 v8, vcc, v10, v8
	v_addc_co_u32_e32 v9, vcc, 0, v9, vcc
	v_add_co_u32_e32 v4, vcc, v4, v8
	v_addc_co_u32_e32 v9, vcc, v7, v9, vcc
	v_mad_u64_u32 v[7:8], s[0:1], v5, v9, 0
	v_mul_hi_u32 v10, v5, v4
	v_add_co_u32_e32 v11, vcc, v10, v7
	v_addc_co_u32_e32 v12, vcc, 0, v8, vcc
	v_mad_u64_u32 v[7:8], s[0:1], v6, v4, 0
	v_mad_u64_u32 v[9:10], s[0:1], v6, v9, 0
	v_add_co_u32_e32 v4, vcc, v11, v7
	v_addc_co_u32_e32 v4, vcc, v12, v8, vcc
	v_addc_co_u32_e32 v7, vcc, 0, v10, vcc
	v_add_co_u32_e32 v4, vcc, v4, v9
	v_addc_co_u32_e32 v9, vcc, 0, v7, vcc
	v_mul_lo_u32 v10, s25, v4
	v_mul_lo_u32 v11, s24, v9
	v_mad_u64_u32 v[7:8], s[0:1], s24, v4, 0
	v_add3_u32 v8, v8, v11, v10
	v_sub_u32_e32 v10, v6, v8
	v_mov_b32_e32 v11, s25
	v_sub_co_u32_e32 v7, vcc, v5, v7
	v_subb_co_u32_e64 v10, s[0:1], v10, v11, vcc
	v_subrev_co_u32_e64 v11, s[0:1], s24, v7
	v_subbrev_co_u32_e64 v10, s[0:1], 0, v10, s[0:1]
	v_cmp_le_u32_e64 s[0:1], s25, v10
	v_cndmask_b32_e64 v12, 0, -1, s[0:1]
	v_cmp_le_u32_e64 s[0:1], s24, v11
	v_cndmask_b32_e64 v11, 0, -1, s[0:1]
	v_cmp_eq_u32_e64 s[0:1], s25, v10
	v_cndmask_b32_e64 v10, v12, v11, s[0:1]
	v_add_co_u32_e64 v11, s[0:1], 2, v4
	v_addc_co_u32_e64 v12, s[0:1], 0, v9, s[0:1]
	v_add_co_u32_e64 v13, s[0:1], 1, v4
	v_addc_co_u32_e64 v14, s[0:1], 0, v9, s[0:1]
	v_subb_co_u32_e32 v8, vcc, v6, v8, vcc
	v_cmp_ne_u32_e64 s[0:1], 0, v10
	v_cmp_le_u32_e32 vcc, s25, v8
	v_cndmask_b32_e64 v10, v14, v12, s[0:1]
	v_cndmask_b32_e64 v12, 0, -1, vcc
	v_cmp_le_u32_e32 vcc, s24, v7
	v_cndmask_b32_e64 v7, 0, -1, vcc
	v_cmp_eq_u32_e32 vcc, s25, v8
	v_cndmask_b32_e32 v7, v12, v7, vcc
	v_cmp_ne_u32_e32 vcc, 0, v7
	v_cndmask_b32_e64 v7, v13, v11, s[0:1]
	v_cndmask_b32_e32 v117, v9, v10, vcc
	v_cndmask_b32_e32 v116, v4, v7, vcc
.LBB0_4:                                ;   in Loop: Header=BB0_2 Depth=1
	s_andn2_saveexec_b64 s[0:1], s[26:27]
	s_cbranch_execz .LBB0_6
; %bb.5:                                ;   in Loop: Header=BB0_2 Depth=1
	v_cvt_f32_u32_e32 v4, s24
	s_sub_i32 s26, 0, s24
	v_mov_b32_e32 v117, v3
	v_rcp_iflag_f32_e32 v4, v4
	v_mul_f32_e32 v4, 0x4f7ffffe, v4
	v_cvt_u32_f32_e32 v4, v4
	v_mul_lo_u32 v7, s26, v4
	v_mul_hi_u32 v7, v4, v7
	v_add_u32_e32 v4, v4, v7
	v_mul_hi_u32 v4, v5, v4
	v_mul_lo_u32 v7, v4, s24
	v_add_u32_e32 v8, 1, v4
	v_sub_u32_e32 v7, v5, v7
	v_subrev_u32_e32 v9, s24, v7
	v_cmp_le_u32_e32 vcc, s24, v7
	v_cndmask_b32_e32 v7, v7, v9, vcc
	v_cndmask_b32_e32 v4, v4, v8, vcc
	v_add_u32_e32 v8, 1, v4
	v_cmp_le_u32_e32 vcc, s24, v7
	v_cndmask_b32_e32 v116, v4, v8, vcc
.LBB0_6:                                ;   in Loop: Header=BB0_2 Depth=1
	s_or_b64 exec, exec, s[0:1]
	v_mul_lo_u32 v4, v117, s24
	v_mul_lo_u32 v9, v116, s25
	v_mad_u64_u32 v[7:8], s[0:1], v116, s24, 0
	s_load_dwordx2 s[0:1], s[6:7], 0x0
	s_load_dwordx2 s[24:25], s[2:3], 0x0
	v_add3_u32 v4, v8, v9, v4
	v_sub_co_u32_e32 v5, vcc, v5, v7
	v_subb_co_u32_e32 v4, vcc, v6, v4, vcc
	s_waitcnt lgkmcnt(0)
	v_mul_lo_u32 v6, s0, v4
	v_mul_lo_u32 v7, s1, v5
	v_mad_u64_u32 v[1:2], s[0:1], s0, v5, v[1:2]
	v_mul_lo_u32 v4, s24, v4
	v_mul_lo_u32 v8, s25, v5
	v_mad_u64_u32 v[112:113], s[0:1], s24, v5, v[112:113]
	s_add_u32 s22, s22, 1
	s_addc_u32 s23, s23, 0
	s_add_u32 s2, s2, 8
	v_add3_u32 v113, v8, v113, v4
	s_addc_u32 s3, s3, 0
	v_mov_b32_e32 v4, s14
	s_add_u32 s6, s6, 8
	v_mov_b32_e32 v5, s15
	s_addc_u32 s7, s7, 0
	v_cmp_ge_u64_e32 vcc, s[22:23], v[4:5]
	s_add_u32 s20, s20, 8
	v_add3_u32 v2, v7, v2, v6
	s_addc_u32 s21, s21, 0
	s_cbranch_vccnz .LBB0_9
; %bb.7:                                ;   in Loop: Header=BB0_2 Depth=1
	v_mov_b32_e32 v5, v116
	v_mov_b32_e32 v6, v117
	s_branch .LBB0_2
.LBB0_8:
	v_mov_b32_e32 v113, v2
	v_mov_b32_e32 v117, v6
	;; [unrolled: 1-line block ×4, first 2 shown]
.LBB0_9:
	s_load_dwordx2 s[4:5], s[4:5], 0x28
	s_lshl_b64 s[6:7], s[14:15], 3
	s_add_u32 s2, s18, s6
	s_addc_u32 s3, s19, s7
                                        ; implicit-def: $vgpr114
                                        ; implicit-def: $vgpr118
                                        ; implicit-def: $vgpr129
                                        ; implicit-def: $vgpr128
                                        ; implicit-def: $vgpr127
                                        ; implicit-def: $vgpr126
                                        ; implicit-def: $vgpr125
                                        ; implicit-def: $vgpr124
                                        ; implicit-def: $vgpr123
                                        ; implicit-def: $vgpr122
                                        ; implicit-def: $vgpr121
                                        ; implicit-def: $vgpr120
	s_waitcnt lgkmcnt(0)
	v_cmp_gt_u64_e64 s[0:1], s[4:5], v[116:117]
	v_cmp_le_u64_e32 vcc, s[4:5], v[116:117]
	s_and_saveexec_b64 s[4:5], vcc
	s_xor_b64 s[4:5], exec, s[4:5]
	s_cbranch_execz .LBB0_11
; %bb.10:
	s_mov_b32 s14, 0x4104105
	v_mul_hi_u32 v1, v0, s14
	v_mul_u32_u24_e32 v1, 63, v1
	v_sub_u32_e32 v114, v0, v1
	v_add_u32_e32 v118, 63, v114
	v_add_u32_e32 v129, 0x7e, v114
	;; [unrolled: 1-line block ×11, first 2 shown]
                                        ; implicit-def: $vgpr0
                                        ; implicit-def: $vgpr1_vgpr2
.LBB0_11:
	s_andn2_saveexec_b64 s[4:5], s[4:5]
	s_cbranch_execz .LBB0_13
; %bb.12:
	s_add_u32 s6, s16, s6
	s_addc_u32 s7, s17, s7
	s_load_dwordx2 s[6:7], s[6:7], 0x0
	s_mov_b32 s14, 0x4104105
	v_mul_hi_u32 v5, v0, s14
	s_waitcnt lgkmcnt(0)
	v_mul_lo_u32 v6, s7, v116
	v_mul_lo_u32 v7, s6, v117
	v_mad_u64_u32 v[3:4], s[6:7], s6, v116, 0
	v_mul_u32_u24_e32 v5, 63, v5
	v_sub_u32_e32 v114, v0, v5
	v_add3_u32 v4, v4, v7, v6
	v_lshlrev_b64 v[3:4], 4, v[3:4]
	v_mov_b32_e32 v0, s9
	v_add_co_u32_e32 v3, vcc, s8, v3
	v_addc_co_u32_e32 v4, vcc, v0, v4, vcc
	v_lshlrev_b64 v[0:1], 4, v[1:2]
	v_lshlrev_b32_e32 v98, 4, v114
	v_add_co_u32_e32 v0, vcc, v3, v0
	v_addc_co_u32_e32 v1, vcc, v4, v1, vcc
	v_add_co_u32_e32 v83, vcc, v0, v98
	v_addc_co_u32_e32 v84, vcc, 0, v1, vcc
	s_movk_i32 s6, 0x1000
	v_add_co_u32_e32 v48, vcc, s6, v83
	v_addc_co_u32_e32 v49, vcc, 0, v84, vcc
	s_movk_i32 s6, 0x2000
	v_add_co_u32_e32 v64, vcc, s6, v83
	v_addc_co_u32_e32 v65, vcc, 0, v84, vcc
	s_movk_i32 s6, 0x3000
	v_add_co_u32_e32 v72, vcc, s6, v83
	v_addc_co_u32_e32 v73, vcc, 0, v84, vcc
	s_movk_i32 s6, 0x4000
	v_add_co_u32_e32 v85, vcc, s6, v83
	v_addc_co_u32_e32 v86, vcc, 0, v84, vcc
	v_add_co_u32_e32 v96, vcc, 0x5000, v83
	v_addc_co_u32_e32 v97, vcc, 0, v84, vcc
	global_load_dwordx4 v[0:3], v[83:84], off
	global_load_dwordx4 v[4:7], v[83:84], off offset:1008
	global_load_dwordx4 v[8:11], v[83:84], off offset:2016
	;; [unrolled: 1-line block ×11, first 2 shown]
	s_nop 0
	global_load_dwordx4 v[48:51], v[64:65], off offset:3904
	global_load_dwordx4 v[52:55], v[72:73], off offset:816
	;; [unrolled: 1-line block ×4, first 2 shown]
	s_nop 0
	global_load_dwordx4 v[64:67], v[72:73], off offset:3840
	global_load_dwordx4 v[68:71], v[85:86], off offset:752
	s_nop 0
	global_load_dwordx4 v[72:75], v[85:86], off offset:1760
	global_load_dwordx4 v[76:79], v[85:86], off offset:2768
	;; [unrolled: 1-line block ×3, first 2 shown]
	s_nop 0
	global_load_dwordx4 v[84:87], v[96:97], off offset:688
	global_load_dwordx4 v[88:91], v[96:97], off offset:1696
	;; [unrolled: 1-line block ×3, first 2 shown]
	v_add_u32_e32 v96, 0, v98
	v_add_u32_e32 v118, 63, v114
	;; [unrolled: 1-line block ×12, first 2 shown]
	s_waitcnt vmcnt(23)
	ds_write_b128 v96, v[0:3]
	s_waitcnt vmcnt(22)
	ds_write_b128 v96, v[4:7] offset:1008
	s_waitcnt vmcnt(21)
	ds_write_b128 v96, v[8:11] offset:2016
	;; [unrolled: 2-line block ×23, first 2 shown]
.LBB0_13:
	s_or_b64 exec, exec, s[4:5]
	v_lshlrev_b32_e32 v115, 4, v114
	v_add_u32_e32 v137, 0, v115
	s_load_dwordx2 s[4:5], s[2:3], 0x0
	s_waitcnt lgkmcnt(0)
	; wave barrier
	s_waitcnt lgkmcnt(0)
	ds_read_b128 v[0:3], v137 offset:12096
	ds_read_b128 v[4:7], v137
	ds_read_b128 v[8:11], v137 offset:1008
	ds_read_b128 v[12:15], v137 offset:13104
	;; [unrolled: 1-line block ×4, first 2 shown]
	v_add_u32_e32 v96, v137, v115
	s_waitcnt lgkmcnt(4)
	v_add_f64 v[0:1], v[4:5], -v[0:1]
	v_add_f64 v[2:3], v[6:7], -v[2:3]
	s_waitcnt lgkmcnt(2)
	v_add_f64 v[12:13], v[8:9], -v[12:13]
	v_add_f64 v[14:15], v[10:11], -v[14:15]
	ds_read_b128 v[24:27], v137 offset:14112
	ds_read_b128 v[28:31], v137 offset:15120
	;; [unrolled: 1-line block ×18, first 2 shown]
	s_waitcnt lgkmcnt(0)
	; wave barrier
	s_waitcnt lgkmcnt(0)
	v_lshl_add_u32 v138, v125, 5, 0
	v_fma_f64 v[4:5], v[4:5], 2.0, -v[0:1]
	v_fma_f64 v[6:7], v[6:7], 2.0, -v[2:3]
	;; [unrolled: 1-line block ×4, first 2 shown]
	ds_write_b128 v96, v[0:3] offset:16
	v_add_f64 v[0:1], v[20:21], -v[28:29]
	v_add_f64 v[2:3], v[22:23], -v[30:31]
	v_lshl_add_u32 v28, v129, 5, 0
	v_add_f64 v[30:31], v[86:87], -v[94:95]
	ds_write_b128 v96, v[4:7]
	v_add_f64 v[4:5], v[16:17], -v[24:25]
	v_add_f64 v[6:7], v[18:19], -v[26:27]
	v_lshl_add_u32 v26, v118, 5, 0
	v_add_f64 v[24:25], v[32:33], -v[40:41]
	ds_write_b128 v26, v[8:11]
	ds_write_b128 v26, v[12:15] offset:16
	v_add_f64 v[26:27], v[34:35], -v[42:43]
	v_fma_f64 v[8:9], v[20:21], 2.0, -v[0:1]
	v_fma_f64 v[10:11], v[22:23], 2.0, -v[2:3]
	;; [unrolled: 1-line block ×4, first 2 shown]
	ds_write_b128 v28, v[4:7] offset:16
	v_fma_f64 v[12:13], v[32:33], 2.0, -v[24:25]
	v_lshl_add_u32 v4, v128, 5, 0
	v_fma_f64 v[14:15], v[34:35], 2.0, -v[26:27]
	v_lshl_add_u32 v20, v127, 5, 0
	v_add_f64 v[6:7], v[50:51], -v[58:59]
	v_add_f64 v[22:23], v[70:71], -v[78:79]
	ds_write_b128 v28, v[16:19]
	v_add_f64 v[16:17], v[36:37], -v[44:45]
	v_add_f64 v[18:19], v[38:39], -v[46:47]
	ds_write_b128 v4, v[8:11]
	ds_write_b128 v4, v[0:3] offset:16
	v_add_f64 v[4:5], v[48:49], -v[56:57]
	ds_write_b128 v20, v[12:15]
	v_lshl_add_u32 v12, v126, 5, 0
	v_add_f64 v[8:9], v[52:53], -v[60:61]
	v_add_f64 v[10:11], v[54:55], -v[62:63]
	v_fma_f64 v[0:1], v[36:37], 2.0, -v[16:17]
	v_fma_f64 v[2:3], v[38:39], 2.0, -v[18:19]
	ds_write_b128 v20, v[24:27] offset:16
	ds_write_b128 v12, v[0:3]
	ds_write_b128 v12, v[16:19] offset:16
	v_add_f64 v[16:17], v[64:65], -v[72:73]
	v_add_f64 v[18:19], v[66:67], -v[74:75]
	;; [unrolled: 1-line block ×6, first 2 shown]
	v_fma_f64 v[0:1], v[48:49], 2.0, -v[4:5]
	v_fma_f64 v[2:3], v[50:51], 2.0, -v[6:7]
	;; [unrolled: 1-line block ×12, first 2 shown]
	ds_write_b128 v138, v[0:3]
	ds_write_b128 v138, v[4:7] offset:16
	v_and_b32_e32 v6, 1, v118
	v_lshl_add_u32 v136, v124, 5, 0
	v_lshl_add_u32 v135, v123, 5, 0
	;; [unrolled: 1-line block ×5, first 2 shown]
	v_lshlrev_b32_e32 v0, 4, v6
	ds_write_b128 v136, v[12:15]
	ds_write_b128 v136, v[8:11] offset:16
	ds_write_b128 v135, v[32:35]
	ds_write_b128 v135, v[16:19] offset:16
	;; [unrolled: 2-line block ×5, first 2 shown]
	s_waitcnt lgkmcnt(0)
	; wave barrier
	s_waitcnt lgkmcnt(0)
	global_load_dwordx4 v[2:5], v0, s[12:13]
	v_and_b32_e32 v7, 1, v128
	v_lshlrev_b32_e32 v0, 4, v7
	global_load_dwordx4 v[15:18], v0, s[12:13]
	v_and_b32_e32 v9, 1, v126
	v_lshlrev_b32_e32 v0, 4, v9
	v_and_b32_e32 v1, 1, v124
	global_load_dwordx4 v[19:22], v0, s[12:13]
	v_lshlrev_b32_e32 v0, 4, v1
	global_load_dwordx4 v[23:26], v0, s[12:13]
	v_and_b32_e32 v12, 1, v122
	v_lshlrev_b32_e32 v0, 4, v12
	v_and_b32_e32 v13, 1, v114
	global_load_dwordx4 v[27:30], v0, s[12:13]
	v_lshlrev_b32_e32 v0, 4, v13
	global_load_dwordx4 v[31:34], v0, s[12:13]
	v_and_b32_e32 v14, 1, v120
	v_lshlrev_b32_e32 v0, 4, v14
	global_load_dwordx4 v[35:38], v0, s[12:13]
	ds_read_b128 v[39:42], v137 offset:13104
	ds_read_b128 v[43:46], v137 offset:14112
	;; [unrolled: 1-line block ×5, first 2 shown]
	v_lshl_add_u32 v143, v118, 4, 0
	s_movk_i32 s2, 0x7c
	v_lshlrev_b32_e32 v130, 1, v114
	v_and_or_b32 v0, v130, s2, v13
	v_lshl_add_u32 v142, v129, 4, 0
	v_lshlrev_b32_e32 v119, 4, v125
	v_lshlrev_b32_e32 v145, 4, v124
	;; [unrolled: 1-line block ×6, first 2 shown]
	v_lshl_add_u32 v0, v0, 4, 0
	v_lshl_add_u32 v141, v128, 4, 0
	;; [unrolled: 1-line block ×4, first 2 shown]
	s_movk_i32 s2, 0xfc
	s_movk_i32 s3, 0x2fc
	v_and_b32_e32 v131, 3, v118
	v_and_b32_e32 v162, 3, v120
	;; [unrolled: 1-line block ×3, first 2 shown]
	s_mov_b32 s7, 0x3febb67a
	s_movk_i32 s8, 0xab
	s_waitcnt vmcnt(6) lgkmcnt(4)
	v_mul_f64 v[10:11], v[41:42], v[4:5]
	v_mul_f64 v[4:5], v[39:40], v[4:5]
	s_waitcnt vmcnt(5) lgkmcnt(2)
	v_mul_f64 v[59:60], v[49:50], v[17:18]
	v_mul_f64 v[17:18], v[47:48], v[17:18]
	v_fma_f64 v[10:11], v[39:40], v[2:3], v[10:11]
	v_fma_f64 v[73:74], v[41:42], v[2:3], -v[4:5]
	ds_read_b128 v[2:5], v137 offset:18144
	ds_read_b128 v[39:42], v137 offset:19152
	s_waitcnt vmcnt(4) lgkmcnt(2)
	v_mul_f64 v[71:72], v[57:58], v[21:22]
	v_fma_f64 v[75:76], v[47:48], v[15:16], v[59:60]
	v_mul_f64 v[21:22], v[55:56], v[21:22]
	ds_read_b128 v[59:62], v137 offset:21168
	ds_read_b128 v[63:66], v137 offset:20160
	s_waitcnt vmcnt(3) lgkmcnt(2)
	v_mul_f64 v[47:48], v[41:42], v[25:26]
	v_mul_f64 v[25:26], v[39:40], v[25:26]
	v_fma_f64 v[79:80], v[49:50], v[15:16], -v[17:18]
	ds_read_b128 v[15:18], v137 offset:12096
	s_waitcnt vmcnt(2) lgkmcnt(2)
	v_mul_f64 v[77:78], v[61:62], v[29:30]
	v_mul_f64 v[29:30], v[59:60], v[29:30]
	v_fma_f64 v[81:82], v[55:56], v[19:20], v[71:72]
	v_fma_f64 v[83:84], v[57:58], v[19:20], -v[21:22]
	ds_read_b128 v[19:22], v137
	v_fma_f64 v[85:86], v[39:40], v[23:24], v[47:48]
	v_fma_f64 v[87:88], v[41:42], v[23:24], -v[25:26]
	s_waitcnt vmcnt(1) lgkmcnt(1)
	v_mul_f64 v[23:24], v[17:18], v[33:34]
	v_mul_f64 v[25:26], v[15:16], v[33:34]
	v_fma_f64 v[77:78], v[59:60], v[27:28], v[77:78]
	v_fma_f64 v[89:90], v[61:62], v[27:28], -v[29:30]
	v_mul_f64 v[27:28], v[45:46], v[33:34]
	v_mul_f64 v[29:30], v[43:44], v[33:34]
	;; [unrolled: 1-line block ×4, first 2 shown]
	v_fma_f64 v[23:24], v[15:16], v[31:32], v[23:24]
	v_fma_f64 v[25:26], v[17:18], v[31:32], -v[25:26]
	ds_read_b128 v[15:18], v143
	v_mul_f64 v[39:40], v[53:54], v[33:34]
	v_mul_f64 v[41:42], v[51:52], v[33:34]
	v_fma_f64 v[91:92], v[43:44], v[31:32], v[27:28]
	v_fma_f64 v[93:94], v[45:46], v[31:32], -v[29:30]
	v_mul_f64 v[27:28], v[65:66], v[33:34]
	v_mul_f64 v[29:30], v[63:64], v[33:34]
	s_waitcnt lgkmcnt(1)
	v_add_f64 v[23:24], v[19:20], -v[23:24]
	v_add_f64 v[25:26], v[21:22], -v[25:26]
	ds_read_b128 v[67:70], v137 offset:22176
	v_fma_f64 v[99:100], v[2:3], v[31:32], v[47:48]
	v_fma_f64 v[101:102], v[4:5], v[31:32], -v[49:50]
	ds_read_b128 v[2:5], v137 offset:23184
	s_waitcnt lgkmcnt(2)
	v_add_f64 v[71:72], v[15:16], -v[10:11]
	v_add_f64 v[73:74], v[17:18], -v[73:74]
	v_fma_f64 v[95:96], v[51:52], v[31:32], v[39:40]
	v_fma_f64 v[97:98], v[53:54], v[31:32], -v[41:42]
	s_waitcnt lgkmcnt(1)
	v_mul_f64 v[39:40], v[69:70], v[33:34]
	v_mul_f64 v[33:34], v[67:68], v[33:34]
	s_waitcnt vmcnt(0) lgkmcnt(0)
	v_mul_f64 v[41:42], v[4:5], v[37:38]
	v_mul_f64 v[37:38], v[2:3], v[37:38]
	v_fma_f64 v[103:104], v[63:64], v[31:32], v[27:28]
	v_fma_f64 v[105:106], v[65:66], v[31:32], -v[29:30]
	v_fma_f64 v[27:28], v[19:20], 2.0, -v[23:24]
	v_fma_f64 v[29:30], v[21:22], 2.0, -v[25:26]
	;; [unrolled: 1-line block ×4, first 2 shown]
	v_fma_f64 v[107:108], v[67:68], v[31:32], v[39:40]
	v_fma_f64 v[109:110], v[69:70], v[31:32], -v[33:34]
	v_fma_f64 v[149:150], v[2:3], v[35:36], v[41:42]
	v_fma_f64 v[151:152], v[4:5], v[35:36], -v[37:38]
	v_sub_u32_e32 v20, v138, v119
	v_sub_u32_e32 v21, v136, v145
	;; [unrolled: 1-line block ×6, first 2 shown]
	ds_read_b128 v[31:34], v142
	ds_read_b128 v[35:38], v141
	;; [unrolled: 1-line block ×10, first 2 shown]
	s_waitcnt lgkmcnt(0)
	; wave barrier
	s_waitcnt lgkmcnt(0)
	ds_write_b128 v0, v[27:30]
	ds_write_b128 v0, v[23:26] offset:32
	v_lshlrev_b32_e32 v0, 1, v118
	v_and_or_b32 v5, v0, s2, v6
	v_lshl_add_u32 v5, v5, 4, 0
	v_add_f64 v[23:24], v[31:32], -v[91:92]
	v_add_f64 v[25:26], v[33:34], -v[93:94]
	ds_write_b128 v5, v[15:18]
	ds_write_b128 v5, v[71:74] offset:32
	v_add_f64 v[15:16], v[35:36], -v[75:76]
	v_add_f64 v[17:18], v[37:38], -v[79:80]
	s_movk_i32 s2, 0x1fc
	v_lshlrev_b32_e32 v5, 1, v129
	v_and_or_b32 v6, v5, s2, v13
	v_fma_f64 v[27:28], v[31:32], 2.0, -v[23:24]
	v_fma_f64 v[29:30], v[33:34], 2.0, -v[25:26]
	v_lshl_add_u32 v6, v6, 4, 0
	v_fma_f64 v[31:32], v[35:36], 2.0, -v[15:16]
	v_fma_f64 v[33:34], v[37:38], 2.0, -v[17:18]
	v_add_f64 v[35:36], v[39:40], -v[95:96]
	v_add_f64 v[37:38], v[41:42], -v[97:98]
	ds_write_b128 v6, v[27:30]
	ds_write_b128 v6, v[23:26] offset:32
	v_add_f64 v[27:28], v[43:44], -v[81:82]
	v_add_f64 v[29:30], v[45:46], -v[83:84]
	v_lshlrev_b32_e32 v6, 1, v128
	v_fma_f64 v[23:24], v[39:40], 2.0, -v[35:36]
	v_fma_f64 v[25:26], v[41:42], 2.0, -v[37:38]
	v_and_or_b32 v7, v6, s2, v7
	v_lshl_add_u32 v7, v7, 4, 0
	ds_write_b128 v7, v[31:34]
	ds_write_b128 v7, v[15:18] offset:32
	s_movk_i32 s2, 0x3fc
	v_lshlrev_b32_e32 v7, 1, v127
	v_and_or_b32 v8, v7, s2, v13
	v_lshl_add_u32 v8, v8, 4, 0
	ds_write_b128 v8, v[23:26]
	v_add_f64 v[23:24], v[47:48], -v[99:100]
	v_add_f64 v[25:26], v[49:50], -v[101:102]
	v_fma_f64 v[15:16], v[43:44], 2.0, -v[27:28]
	v_fma_f64 v[17:18], v[45:46], 2.0, -v[29:30]
	ds_write_b128 v8, v[35:38] offset:32
	v_lshlrev_b32_e32 v8, 1, v126
	v_and_or_b32 v9, v8, s3, v9
	v_lshl_add_u32 v9, v9, 4, 0
	ds_write_b128 v9, v[27:30] offset:32
	v_fma_f64 v[27:28], v[47:48], 2.0, -v[23:24]
	v_fma_f64 v[29:30], v[49:50], 2.0, -v[25:26]
	ds_write_b128 v9, v[15:18]
	v_add_f64 v[15:16], v[51:52], -v[85:86]
	v_add_f64 v[17:18], v[53:54], -v[87:88]
	;; [unrolled: 1-line block ×4, first 2 shown]
	v_lshlrev_b32_e32 v9, 1, v125
	v_and_or_b32 v10, v9, s2, v13
	v_lshl_add_u32 v10, v10, 4, 0
	ds_write_b128 v10, v[27:30]
	ds_write_b128 v10, v[23:26] offset:32
	v_lshlrev_b32_e32 v10, 1, v124
	v_fma_f64 v[31:32], v[51:52], 2.0, -v[15:16]
	v_fma_f64 v[33:34], v[53:54], 2.0, -v[17:18]
	v_and_or_b32 v1, v10, s2, v1
	v_lshl_add_u32 v1, v1, 4, 0
	v_fma_f64 v[23:24], v[55:56], 2.0, -v[35:36]
	v_fma_f64 v[25:26], v[57:58], 2.0, -v[37:38]
	ds_write_b128 v1, v[15:18] offset:32
	v_add_f64 v[15:16], v[59:60], -v[77:78]
	v_add_f64 v[17:18], v[61:62], -v[89:90]
	s_movk_i32 s2, 0x7fc
	v_lshlrev_b32_e32 v11, 1, v123
	ds_write_b128 v1, v[31:34]
	v_and_or_b32 v1, v11, s2, v13
	v_lshl_add_u32 v1, v1, 4, 0
	ds_write_b128 v1, v[23:26]
	ds_write_b128 v1, v[35:38] offset:32
	v_fma_f64 v[23:24], v[59:60], 2.0, -v[15:16]
	v_fma_f64 v[25:26], v[61:62], 2.0, -v[17:18]
	v_add_f64 v[27:28], v[63:64], -v[107:108]
	v_add_f64 v[29:30], v[65:66], -v[109:110]
	;; [unrolled: 1-line block ×4, first 2 shown]
	s_movk_i32 s2, 0x4fc
	v_lshlrev_b32_e32 v1, 1, v122
	v_and_or_b32 v12, v1, s2, v12
	v_lshl_add_u32 v12, v12, 4, 0
	ds_write_b128 v12, v[23:26]
	v_fma_f64 v[23:24], v[63:64], 2.0, -v[27:28]
	v_fma_f64 v[25:26], v[65:66], 2.0, -v[29:30]
	ds_write_b128 v12, v[15:18] offset:32
	v_fma_f64 v[15:16], v[67:68], 2.0, -v[31:32]
	v_fma_f64 v[17:18], v[69:70], 2.0, -v[33:34]
	s_movk_i32 s2, 0x5fc
	v_lshlrev_b32_e32 v12, 1, v121
	v_and_or_b32 v13, v12, s2, v13
	v_lshl_add_u32 v13, v13, 4, 0
	ds_write_b128 v13, v[23:26]
	ds_write_b128 v13, v[27:30] offset:32
	v_lshlrev_b32_e32 v13, 1, v120
	v_and_or_b32 v14, v13, s2, v14
	v_lshl_add_u32 v14, v14, 4, 0
	ds_write_b128 v14, v[15:18]
	ds_write_b128 v14, v[31:34] offset:32
	v_lshlrev_b32_e32 v14, 4, v131
	s_waitcnt lgkmcnt(0)
	; wave barrier
	s_waitcnt lgkmcnt(0)
	global_load_dwordx4 v[24:27], v14, s[12:13] offset:32
	v_lshlrev_b32_e32 v60, 4, v162
	global_load_dwordx4 v[60:63], v60, s[12:13] offset:32
	v_lshlrev_b32_e32 v14, 4, v161
	v_and_b32_e32 v19, 3, v128
	global_load_dwordx4 v[28:31], v14, s[12:13] offset:32
	v_lshlrev_b32_e32 v14, 4, v19
	global_load_dwordx4 v[32:35], v14, s[12:13] offset:32
	v_and_b32_e32 v16, 3, v126
	v_lshlrev_b32_e32 v14, 4, v16
	global_load_dwordx4 v[36:39], v14, s[12:13] offset:32
	v_and_b32_e32 v14, 3, v125
	;; [unrolled: 3-line block ×6, first 2 shown]
	v_lshlrev_b32_e32 v56, 4, v23
	global_load_dwordx4 v[56:59], v56, s[12:13] offset:32
	ds_read_b128 v[64:67], v137 offset:13104
	ds_read_b128 v[68:71], v137 offset:14112
	;; [unrolled: 1-line block ×4, first 2 shown]
	s_movk_i32 s2, 0x78
	s_movk_i32 s3, 0x2f8
	s_waitcnt vmcnt(9) lgkmcnt(3)
	v_mul_f64 v[76:77], v[66:67], v[26:27]
	v_mul_f64 v[26:27], v[64:65], v[26:27]
	s_waitcnt vmcnt(7) lgkmcnt(2)
	v_mul_f64 v[84:85], v[70:71], v[30:31]
	v_mul_f64 v[30:31], v[68:69], v[30:31]
	v_fma_f64 v[86:87], v[64:65], v[24:25], v[76:77]
	ds_read_b128 v[76:79], v137 offset:16128
	s_waitcnt vmcnt(6) lgkmcnt(2)
	v_mul_f64 v[64:65], v[74:75], v[34:35]
	v_fma_f64 v[88:89], v[66:67], v[24:25], -v[26:27]
	ds_read_b128 v[24:27], v137 offset:18144
	s_waitcnt vmcnt(5) lgkmcnt(2)
	v_mul_f64 v[66:67], v[82:83], v[38:39]
	v_mul_f64 v[38:39], v[80:81], v[38:39]
	;; [unrolled: 1-line block ×3, first 2 shown]
	v_fma_f64 v[84:85], v[68:69], v[28:29], v[84:85]
	v_fma_f64 v[90:91], v[70:71], v[28:29], -v[30:31]
	v_fma_f64 v[92:93], v[72:73], v[32:33], v[64:65]
	s_waitcnt vmcnt(4) lgkmcnt(0)
	v_mul_f64 v[64:65], v[26:27], v[42:43]
	v_mul_f64 v[42:43], v[24:25], v[42:43]
	ds_read_b128 v[28:31], v137 offset:19152
	v_fma_f64 v[80:81], v[80:81], v[36:37], v[66:67]
	v_fma_f64 v[82:83], v[82:83], v[36:37], -v[38:39]
	ds_read_b128 v[36:39], v137 offset:12096
	v_fma_f64 v[94:95], v[74:75], v[32:33], -v[34:35]
	ds_read_b128 v[32:35], v137 offset:20160
	s_waitcnt vmcnt(3) lgkmcnt(2)
	v_mul_f64 v[66:67], v[30:31], v[46:47]
	v_mul_f64 v[46:47], v[28:29], v[46:47]
	v_fma_f64 v[96:97], v[24:25], v[40:41], v[64:65]
	v_fma_f64 v[98:99], v[26:27], v[40:41], -v[42:43]
	ds_read_b128 v[24:27], v137
	s_waitcnt vmcnt(2) lgkmcnt(2)
	v_mul_f64 v[40:41], v[38:39], v[50:51]
	v_mul_f64 v[42:43], v[36:37], v[50:51]
	;; [unrolled: 1-line block ×3, first 2 shown]
	v_fma_f64 v[100:101], v[28:29], v[44:45], v[66:67]
	v_mul_f64 v[66:67], v[76:77], v[50:51]
	s_waitcnt lgkmcnt(1)
	v_mul_f64 v[68:69], v[34:35], v[50:51]
	v_fma_f64 v[102:103], v[30:31], v[44:45], -v[46:47]
	v_mul_f64 v[44:45], v[32:33], v[50:51]
	v_fma_f64 v[46:47], v[36:37], v[48:49], v[40:41]
	v_fma_f64 v[50:51], v[38:39], v[48:49], -v[42:43]
	ds_read_b128 v[28:31], v137 offset:21168
	ds_read_b128 v[36:39], v137 offset:22176
	ds_read_b128 v[40:43], v143
	v_fma_f64 v[108:109], v[32:33], v[48:49], v[68:69]
	v_fma_f64 v[104:105], v[76:77], v[48:49], v[64:65]
	v_fma_f64 v[110:111], v[34:35], v[48:49], -v[44:45]
	s_waitcnt lgkmcnt(3)
	v_add_f64 v[44:45], v[24:25], -v[46:47]
	v_add_f64 v[46:47], v[26:27], -v[50:51]
	ds_read_b128 v[32:35], v137 offset:23184
	v_fma_f64 v[106:107], v[78:79], v[48:49], -v[66:67]
	s_waitcnt vmcnt(1) lgkmcnt(3)
	v_mul_f64 v[48:49], v[30:31], v[54:55]
	v_mul_f64 v[54:55], v[28:29], v[54:55]
	s_waitcnt vmcnt(0) lgkmcnt(2)
	v_mul_f64 v[64:65], v[38:39], v[58:59]
	v_mul_f64 v[58:59], v[36:37], v[58:59]
	s_waitcnt lgkmcnt(0)
	v_mul_f64 v[66:67], v[34:35], v[62:63]
	v_mul_f64 v[62:63], v[32:33], v[62:63]
	v_fma_f64 v[24:25], v[24:25], 2.0, -v[44:45]
	v_fma_f64 v[26:27], v[26:27], 2.0, -v[46:47]
	v_add_f64 v[68:69], v[40:41], -v[86:87]
	v_add_f64 v[70:71], v[42:43], -v[88:89]
	v_fma_f64 v[149:150], v[28:29], v[52:53], v[48:49]
	v_fma_f64 v[151:152], v[30:31], v[52:53], -v[54:55]
	v_fma_f64 v[153:154], v[36:37], v[56:57], v[64:65]
	v_fma_f64 v[155:156], v[38:39], v[56:57], -v[58:59]
	;; [unrolled: 2-line block ×3, first 2 shown]
	ds_read_b128 v[28:31], v3
	ds_read_b128 v[32:35], v4
	;; [unrolled: 1-line block ×8, first 2 shown]
	v_and_or_b32 v2, v130, s2, v17
	v_lshl_add_u32 v2, v2, 4, 0
	ds_read_b128 v[72:75], v20
	ds_read_b128 v[76:79], v21
	s_waitcnt lgkmcnt(0)
	; wave barrier
	s_waitcnt lgkmcnt(0)
	v_fma_f64 v[40:41], v[40:41], 2.0, -v[68:69]
	v_fma_f64 v[42:43], v[42:43], 2.0, -v[70:71]
	ds_write_b128 v2, v[24:27]
	v_add_f64 v[24:25], v[52:53], -v[84:85]
	v_add_f64 v[26:27], v[54:55], -v[90:91]
	s_movk_i32 s2, 0xf8
	v_and_or_b32 v0, v0, s2, v131
	v_lshl_add_u32 v0, v0, 4, 0
	ds_write_b128 v2, v[44:47] offset:64
	ds_write_b128 v0, v[40:43]
	ds_write_b128 v0, v[68:71] offset:64
	v_add_f64 v[44:45], v[56:57], -v[92:93]
	v_fma_f64 v[40:41], v[52:53], 2.0, -v[24:25]
	v_fma_f64 v[42:43], v[54:55], 2.0, -v[26:27]
	v_add_f64 v[46:47], v[58:59], -v[94:95]
	s_movk_i32 s2, 0x1f8
	v_and_or_b32 v0, v5, s2, v161
	v_add_f64 v[2:3], v[60:61], -v[104:105]
	v_add_f64 v[4:5], v[62:63], -v[106:107]
	v_lshl_add_u32 v0, v0, 4, 0
	ds_write_b128 v0, v[24:27] offset:64
	ds_write_b128 v0, v[40:43]
	v_fma_f64 v[40:41], v[56:57], 2.0, -v[44:45]
	v_fma_f64 v[42:43], v[58:59], 2.0, -v[46:47]
	v_add_f64 v[52:53], v[64:65], -v[80:81]
	v_fma_f64 v[24:25], v[60:61], 2.0, -v[2:3]
	v_fma_f64 v[26:27], v[62:63], 2.0, -v[4:5]
	v_add_f64 v[54:55], v[66:67], -v[82:83]
	v_and_or_b32 v0, v6, s2, v19
	v_lshl_add_u32 v0, v0, 4, 0
	s_movk_i32 s2, 0x3f8
	ds_write_b128 v0, v[40:43]
	ds_write_b128 v0, v[44:47] offset:64
	v_and_or_b32 v0, v7, s2, v17
	v_lshl_add_u32 v0, v0, 4, 0
	ds_write_b128 v0, v[24:27]
	v_fma_f64 v[24:25], v[64:65], 2.0, -v[52:53]
	v_fma_f64 v[26:27], v[66:67], 2.0, -v[54:55]
	ds_write_b128 v0, v[2:5] offset:64
	v_add_f64 v[2:3], v[72:73], -v[96:97]
	v_add_f64 v[4:5], v[74:75], -v[98:99]
	;; [unrolled: 1-line block ×4, first 2 shown]
	v_and_or_b32 v0, v8, s3, v16
	v_lshl_add_u32 v0, v0, 4, 0
	ds_write_b128 v0, v[24:27]
	ds_write_b128 v0, v[52:55] offset:64
	v_fma_f64 v[24:25], v[72:73], 2.0, -v[2:3]
	v_fma_f64 v[26:27], v[74:75], 2.0, -v[4:5]
	v_and_or_b32 v0, v9, s2, v14
	v_fma_f64 v[6:7], v[76:77], 2.0, -v[40:41]
	v_add_f64 v[44:45], v[48:49], -v[108:109]
	v_add_f64 v[46:47], v[50:51], -v[110:111]
	v_fma_f64 v[8:9], v[78:79], 2.0, -v[42:43]
	v_lshl_add_u32 v0, v0, 4, 0
	ds_write_b128 v0, v[24:27]
	ds_write_b128 v0, v[2:5] offset:64
	v_and_or_b32 v0, v10, s2, v15
	v_lshl_add_u32 v0, v0, 4, 0
	v_fma_f64 v[2:3], v[48:49], 2.0, -v[44:45]
	v_fma_f64 v[4:5], v[50:51], 2.0, -v[46:47]
	ds_write_b128 v0, v[6:9]
	v_add_f64 v[6:7], v[36:37], -v[149:150]
	v_add_f64 v[8:9], v[38:39], -v[151:152]
	s_movk_i32 s2, 0x7f8
	ds_write_b128 v0, v[40:43] offset:64
	v_and_or_b32 v0, v11, s2, v17
	v_add_f64 v[14:15], v[28:29], -v[153:154]
	v_add_f64 v[16:17], v[30:31], -v[155:156]
	v_lshl_add_u32 v0, v0, 4, 0
	ds_write_b128 v0, v[2:5]
	ds_write_b128 v0, v[44:47] offset:64
	v_fma_f64 v[2:3], v[36:37], 2.0, -v[6:7]
	v_fma_f64 v[4:5], v[38:39], 2.0, -v[8:9]
	v_add_f64 v[24:25], v[32:33], -v[157:158]
	v_add_f64 v[26:27], v[34:35], -v[159:160]
	s_movk_i32 s2, 0x4f8
	v_and_or_b32 v0, v1, s2, v18
	v_fma_f64 v[28:29], v[28:29], 2.0, -v[14:15]
	v_fma_f64 v[30:31], v[30:31], 2.0, -v[16:17]
	v_lshl_add_u32 v0, v0, 4, 0
	ds_write_b128 v0, v[2:5]
	ds_write_b128 v0, v[6:9] offset:64
	v_fma_f64 v[0:1], v[32:33], 2.0, -v[24:25]
	v_fma_f64 v[2:3], v[34:35], 2.0, -v[26:27]
	s_movk_i32 s2, 0x5f8
	v_and_or_b32 v4, v12, s2, v23
	v_lshl_add_u32 v4, v4, 4, 0
	ds_write_b128 v4, v[28:31]
	ds_write_b128 v4, v[14:17] offset:64
	v_and_or_b32 v4, v13, s2, v162
	v_lshl_add_u32 v4, v4, 4, 0
	v_and_b32_e32 v30, 7, v114
	ds_write_b128 v4, v[0:3]
	ds_write_b128 v4, v[24:27] offset:64
	v_lshlrev_b32_e32 v4, 5, v30
	s_waitcnt lgkmcnt(0)
	; wave barrier
	s_waitcnt lgkmcnt(0)
	global_load_dwordx4 v[0:3], v4, s[12:13] offset:96
	s_nop 0
	global_load_dwordx4 v[4:7], v4, s[12:13] offset:112
	v_and_b32_e32 v29, 7, v118
	v_lshlrev_b32_e32 v16, 5, v29
	global_load_dwordx4 v[8:11], v16, s[12:13] offset:96
	global_load_dwordx4 v[12:15], v16, s[12:13] offset:112
	v_and_b32_e32 v27, 7, v129
	v_lshlrev_b32_e32 v23, 5, v27
	global_load_dwordx4 v[16:19], v23, s[12:13] offset:96
	;; [unrolled: 4-line block ×7, first 2 shown]
	global_load_dwordx4 v[71:74], v75, s[12:13] offset:112
	ds_read_b128 v[75:78], v22
	ds_read_b128 v[79:82], v21
	ds_read_b128 v[83:86], v137 offset:16128
	ds_read_b128 v[87:90], v137 offset:17136
	ds_read_b128 v[91:94], v137 offset:9072
	s_mov_b32 s2, 0xe8584caa
	s_mov_b32 s3, 0xbfebb67a
	;; [unrolled: 1-line block ×3, first 2 shown]
	v_mov_b32_e32 v131, 0
	s_waitcnt vmcnt(15) lgkmcnt(4)
	v_mul_f64 v[95:96], v[77:78], v[2:3]
	v_mul_f64 v[2:3], v[75:76], v[2:3]
	s_waitcnt vmcnt(14) lgkmcnt(2)
	v_mul_f64 v[99:100], v[85:86], v[6:7]
	v_mul_f64 v[6:7], v[83:84], v[6:7]
	;; [unrolled: 3-line block ×3, first 2 shown]
	v_fma_f64 v[101:102], v[75:76], v[0:1], v[95:96]
	s_waitcnt lgkmcnt(0)
	v_mul_f64 v[75:76], v[93:94], v[10:11]
	ds_read_b128 v[95:98], v137
	v_fma_f64 v[103:104], v[77:78], v[0:1], -v[2:3]
	ds_read_b128 v[0:3], v137 offset:10080
	v_mul_f64 v[10:11], v[91:92], v[10:11]
	v_fma_f64 v[99:100], v[83:84], v[4:5], v[99:100]
	v_fma_f64 v[107:108], v[85:86], v[4:5], -v[6:7]
	v_fma_f64 v[87:88], v[87:88], v[12:13], v[105:106]
	v_fma_f64 v[91:92], v[91:92], v[8:9], v[75:76]
	ds_read_b128 v[4:7], v137 offset:18144
	ds_read_b128 v[75:78], v137 offset:11088
	s_waitcnt vmcnt(11) lgkmcnt(2)
	v_mul_f64 v[109:110], v[2:3], v[18:19]
	v_mul_f64 v[18:19], v[0:1], v[18:19]
	v_fma_f64 v[93:94], v[93:94], v[8:9], -v[10:11]
	s_waitcnt vmcnt(10) lgkmcnt(1)
	v_mul_f64 v[149:150], v[6:7], v[33:34]
	v_mul_f64 v[33:34], v[4:5], v[33:34]
	s_waitcnt vmcnt(9) lgkmcnt(0)
	v_mul_f64 v[8:9], v[77:78], v[37:38]
	ds_read_b128 v[83:86], v137 offset:19152
	v_fma_f64 v[89:90], v[89:90], v[12:13], -v[14:15]
	v_fma_f64 v[105:106], v[0:1], v[16:17], v[109:110]
	v_fma_f64 v[109:110], v[2:3], v[16:17], -v[18:19]
	ds_read_b128 v[0:3], v137 offset:12096
	v_mul_f64 v[16:17], v[75:76], v[37:38]
	v_fma_f64 v[149:150], v[4:5], v[31:32], v[149:150]
	v_fma_f64 v[151:152], v[6:7], v[31:32], -v[33:34]
	v_fma_f64 v[75:76], v[75:76], v[35:36], v[8:9]
	ds_read_b128 v[4:7], v137 offset:20160
	ds_read_b128 v[8:11], v137 offset:13104
	s_waitcnt vmcnt(8) lgkmcnt(3)
	v_mul_f64 v[18:19], v[85:86], v[41:42]
	v_mul_f64 v[31:32], v[83:84], v[41:42]
	s_waitcnt vmcnt(7) lgkmcnt(2)
	v_mul_f64 v[33:34], v[2:3], v[45:46]
	v_mul_f64 v[37:38], v[0:1], v[45:46]
	;; [unrolled: 3-line block ×3, first 2 shown]
	v_fma_f64 v[49:50], v[77:78], v[35:36], -v[16:17]
	s_waitcnt vmcnt(5) lgkmcnt(0)
	v_mul_f64 v[16:17], v[10:11], v[53:54]
	v_mul_f64 v[35:36], v[8:9], v[53:54]
	ds_read_b128 v[12:15], v137 offset:21168
	v_fma_f64 v[77:78], v[83:84], v[39:40], v[18:19]
	v_fma_f64 v[83:84], v[85:86], v[39:40], -v[31:32]
	v_fma_f64 v[85:86], v[0:1], v[43:44], v[33:34]
	v_fma_f64 v[153:154], v[2:3], v[43:44], -v[37:38]
	ds_read_b128 v[0:3], v137 offset:14112
	v_fma_f64 v[155:156], v[4:5], v[47:48], v[41:42]
	v_fma_f64 v[46:47], v[6:7], v[47:48], -v[45:46]
	v_fma_f64 v[53:54], v[8:9], v[51:52], v[16:17]
	ds_read_b128 v[4:7], v137 offset:22176
	ds_read_b128 v[16:19], v137 offset:15120
	s_waitcnt vmcnt(3) lgkmcnt(2)
	v_mul_f64 v[39:40], v[2:3], v[61:62]
	v_mul_f64 v[8:9], v[14:15], v[57:58]
	v_fma_f64 v[51:52], v[10:11], v[51:52], -v[35:36]
	s_waitcnt vmcnt(2) lgkmcnt(1)
	v_mul_f64 v[43:44], v[6:7], v[65:66]
	v_mul_f64 v[10:11], v[4:5], v[65:66]
	ds_read_b128 v[31:34], v137 offset:23184
	v_mul_f64 v[41:42], v[0:1], v[61:62]
	v_mul_f64 v[37:38], v[12:13], v[57:58]
	v_fma_f64 v[61:62], v[0:1], v[59:60], v[39:40]
	s_waitcnt vmcnt(1) lgkmcnt(1)
	v_mul_f64 v[0:1], v[18:19], v[69:70]
	v_fma_f64 v[57:58], v[12:13], v[55:56], v[8:9]
	v_fma_f64 v[65:66], v[4:5], v[63:64], v[43:44]
	v_fma_f64 v[63:64], v[6:7], v[63:64], -v[10:11]
	s_waitcnt vmcnt(0) lgkmcnt(0)
	v_mul_f64 v[4:5], v[33:34], v[73:74]
	v_mul_f64 v[6:7], v[31:32], v[73:74]
	v_add_f64 v[8:9], v[101:102], v[99:100]
	v_add_f64 v[10:11], v[103:104], v[107:108]
	v_fma_f64 v[59:60], v[2:3], v[59:60], -v[41:42]
	v_mul_f64 v[2:3], v[16:17], v[69:70]
	v_fma_f64 v[69:70], v[16:17], v[67:68], v[0:1]
	v_add_f64 v[0:1], v[97:98], v[103:104]
	v_add_f64 v[12:13], v[95:96], v[101:102]
	v_fma_f64 v[55:56], v[14:15], v[55:56], -v[37:38]
	v_fma_f64 v[73:74], v[31:32], v[71:72], v[4:5]
	v_fma_f64 v[71:72], v[33:34], v[71:72], -v[6:7]
	v_fma_f64 v[6:7], v[8:9], -0.5, v[95:96]
	v_fma_f64 v[10:11], v[10:11], -0.5, v[97:98]
	v_add_f64 v[8:9], v[103:104], -v[107:108]
	v_add_f64 v[14:15], v[101:102], -v[99:100]
	v_add_f64 v[95:96], v[91:92], v[87:88]
	v_fma_f64 v[67:68], v[18:19], v[67:68], -v[2:3]
	v_add_f64 v[2:3], v[0:1], v[107:108]
	v_add_f64 v[0:1], v[12:13], v[99:100]
	v_lshrrev_b32_e32 v12, 3, v114
	v_mul_u32_u24_e32 v12, 24, v12
	v_fma_f64 v[4:5], v[8:9], s[2:3], v[6:7]
	v_fma_f64 v[8:9], v[8:9], s[6:7], v[6:7]
	;; [unrolled: 1-line block ×4, first 2 shown]
	v_or_b32_e32 v48, v12, v30
	ds_read_b128 v[12:15], v143
	ds_read_b128 v[16:19], v142
	v_add_f64 v[97:98], v[93:94], v[89:90]
	v_lshl_add_u32 v48, v48, 4, 0
	ds_read_b128 v[30:33], v141
	ds_read_b128 v[34:37], v140
	;; [unrolled: 1-line block ×4, first 2 shown]
	s_waitcnt lgkmcnt(5)
	v_fma_f64 v[95:96], v[95:96], -0.5, v[12:13]
	v_add_f64 v[12:13], v[12:13], v[91:92]
	s_waitcnt lgkmcnt(0)
	; wave barrier
	s_waitcnt lgkmcnt(0)
	v_add_f64 v[99:100], v[14:15], v[93:94]
	ds_write_b128 v48, v[0:3]
	ds_write_b128 v48, v[4:7] offset:128
	ds_write_b128 v48, v[8:11] offset:256
	v_fma_f64 v[10:11], v[97:98], -0.5, v[14:15]
	v_add_f64 v[14:15], v[91:92], -v[87:88]
	v_add_f64 v[93:94], v[93:94], -v[89:90]
	v_add_f64 v[0:1], v[12:13], v[87:88]
	v_add_f64 v[12:13], v[105:106], v[149:150]
	v_lshrrev_b32_e32 v6, 3, v118
	v_mul_lo_u32 v48, v6, 24
	v_add_f64 v[2:3], v[99:100], v[89:90]
	v_add_f64 v[89:90], v[109:110], -v[151:152]
	v_fma_f64 v[6:7], v[14:15], s[6:7], v[10:11]
	v_fma_f64 v[10:11], v[14:15], s[2:3], v[10:11]
	v_or_b32_e32 v14, v48, v29
	v_lshl_add_u32 v29, v14, 4, 0
	v_add_f64 v[14:15], v[109:110], v[151:152]
	v_fma_f64 v[4:5], v[93:94], s[2:3], v[95:96]
	v_fma_f64 v[12:13], v[12:13], -0.5, v[16:17]
	v_add_f64 v[16:17], v[16:17], v[105:106]
	v_fma_f64 v[8:9], v[93:94], s[6:7], v[95:96]
	v_add_f64 v[87:88], v[18:19], v[109:110]
	ds_write_b128 v29, v[0:3]
	ds_write_b128 v29, v[4:7] offset:128
	ds_write_b128 v29, v[8:11] offset:256
	v_fma_f64 v[10:11], v[14:15], -0.5, v[18:19]
	v_add_f64 v[14:15], v[105:106], -v[149:150]
	v_add_f64 v[0:1], v[16:17], v[149:150]
	v_lshrrev_b32_e32 v6, 3, v129
	v_add_f64 v[16:17], v[75:76], v[77:78]
	v_mul_lo_u32 v18, v6, 24
	v_fma_f64 v[4:5], v[89:90], s[2:3], v[12:13]
	v_fma_f64 v[8:9], v[89:90], s[6:7], v[12:13]
	v_add_f64 v[2:3], v[87:88], v[151:152]
	v_or_b32_e32 v12, v18, v27
	v_lshl_add_u32 v27, v12, 4, 0
	v_add_f64 v[12:13], v[49:50], v[83:84]
	v_fma_f64 v[6:7], v[14:15], s[6:7], v[10:11]
	v_fma_f64 v[10:11], v[14:15], s[2:3], v[10:11]
	v_fma_f64 v[14:15], v[16:17], -0.5, v[30:31]
	v_add_f64 v[16:17], v[32:33], v[49:50]
	v_add_f64 v[18:19], v[30:31], v[75:76]
	ds_write_b128 v27, v[0:3]
	ds_write_b128 v27, v[4:7] offset:128
	ds_write_b128 v27, v[8:11] offset:256
	v_fma_f64 v[10:11], v[12:13], -0.5, v[32:33]
	v_add_f64 v[12:13], v[75:76], -v[77:78]
	v_add_f64 v[29:30], v[49:50], -v[83:84]
	v_add_f64 v[2:3], v[16:17], v[83:84]
	v_add_f64 v[16:17], v[85:86], v[155:156]
	v_lshrrev_b32_e32 v6, 3, v128
	v_add_f64 v[0:1], v[18:19], v[77:78]
	v_mul_lo_u32 v18, v6, 24
	v_fma_f64 v[6:7], v[12:13], s[6:7], v[10:11]
	v_fma_f64 v[10:11], v[12:13], s[2:3], v[10:11]
	v_or_b32_e32 v12, v18, v26
	v_fma_f64 v[4:5], v[29:30], s[2:3], v[14:15]
	v_fma_f64 v[8:9], v[29:30], s[6:7], v[14:15]
	v_lshl_add_u32 v29, v12, 4, 0
	v_add_f64 v[12:13], v[153:154], v[46:47]
	v_fma_f64 v[14:15], v[16:17], -0.5, v[34:35]
	v_add_f64 v[16:17], v[36:37], v[153:154]
	v_add_f64 v[18:19], v[34:35], v[85:86]
	ds_write_b128 v29, v[0:3]
	ds_write_b128 v29, v[4:7] offset:128
	ds_write_b128 v29, v[8:11] offset:256
	v_add_f64 v[26:27], v[153:154], -v[46:47]
	v_lshrrev_b32_e32 v6, 3, v127
	v_add_f64 v[29:30], v[67:68], -v[71:72]
	v_fma_f64 v[10:11], v[12:13], -0.5, v[36:37]
	v_add_f64 v[12:13], v[85:86], -v[155:156]
	v_add_f64 v[2:3], v[16:17], v[46:47]
	v_add_f64 v[16:17], v[53:54], v[57:58]
	;; [unrolled: 1-line block ×3, first 2 shown]
	v_mul_lo_u32 v18, v6, 24
	v_fma_f64 v[4:5], v[26:27], s[2:3], v[14:15]
	v_fma_f64 v[8:9], v[26:27], s[6:7], v[14:15]
	v_add_f64 v[26:27], v[51:52], -v[55:56]
	v_fma_f64 v[6:7], v[12:13], s[6:7], v[10:11]
	v_fma_f64 v[10:11], v[12:13], s[2:3], v[10:11]
	v_or_b32_e32 v12, v18, v24
	v_lshl_add_u32 v24, v12, 4, 0
	v_add_f64 v[12:13], v[51:52], v[55:56]
	v_fma_f64 v[14:15], v[16:17], -0.5, v[38:39]
	v_add_f64 v[16:17], v[40:41], v[51:52]
	v_add_f64 v[18:19], v[38:39], v[53:54]
	ds_write_b128 v24, v[0:3]
	ds_write_b128 v24, v[4:7] offset:128
	ds_write_b128 v24, v[8:11] offset:256
	v_lshrrev_b32_e32 v6, 3, v126
	v_add_f64 v[33:34], v[69:70], -v[73:74]
	v_fma_f64 v[10:11], v[12:13], -0.5, v[40:41]
	v_add_f64 v[12:13], v[53:54], -v[57:58]
	v_fma_f64 v[4:5], v[26:27], s[2:3], v[14:15]
	v_fma_f64 v[8:9], v[26:27], s[6:7], v[14:15]
	v_add_f64 v[14:15], v[61:62], v[65:66]
	v_add_f64 v[2:3], v[16:17], v[55:56]
	;; [unrolled: 1-line block ×3, first 2 shown]
	v_mul_lo_u32 v16, v6, 24
	v_add_f64 v[18:19], v[59:60], -v[63:64]
	v_fma_f64 v[6:7], v[12:13], s[6:7], v[10:11]
	v_fma_f64 v[10:11], v[12:13], s[2:3], v[10:11]
	v_or_b32_e32 v16, v16, v25
	v_fma_f64 v[14:15], v[14:15], -0.5, v[42:43]
	v_lshl_add_u32 v26, v16, 4, 0
	v_add_f64 v[12:13], v[59:60], v[63:64]
	ds_write_b128 v26, v[0:3]
	v_add_f64 v[0:1], v[44:45], v[59:60]
	v_add_f64 v[16:17], v[42:43], v[61:62]
	ds_write_b128 v26, v[4:7] offset:128
	ds_write_b128 v26, v[8:11] offset:256
	v_add_f64 v[10:11], v[69:70], v[73:74]
	v_fma_f64 v[4:5], v[18:19], s[2:3], v[14:15]
	v_fma_f64 v[8:9], v[18:19], s[6:7], v[14:15]
	v_add_f64 v[14:15], v[67:68], v[71:72]
	v_fma_f64 v[12:13], v[12:13], -0.5, v[44:45]
	v_add_f64 v[24:25], v[61:62], -v[65:66]
	v_add_f64 v[2:3], v[0:1], v[63:64]
	v_add_f64 v[0:1], v[16:17], v[65:66]
	v_lshrrev_b32_e32 v16, 3, v125
	v_mul_lo_u32 v35, v16, 24
	v_add_f64 v[16:17], v[81:82], v[67:68]
	v_add_f64 v[26:27], v[79:80], v[69:70]
	v_fma_f64 v[18:19], v[10:11], -0.5, v[79:80]
	v_fma_f64 v[31:32], v[14:15], -0.5, v[81:82]
	v_fma_f64 v[6:7], v[24:25], s[6:7], v[12:13]
	v_fma_f64 v[10:11], v[24:25], s[2:3], v[12:13]
	v_or_b32_e32 v12, v35, v23
	v_lshl_add_u32 v35, v12, 4, 0
	v_add_f64 v[14:15], v[16:17], v[71:72]
	v_add_f64 v[12:13], v[26:27], v[73:74]
	v_fma_f64 v[16:17], v[29:30], s[2:3], v[18:19]
	v_fma_f64 v[23:24], v[29:30], s[6:7], v[18:19]
	v_fma_f64 v[18:19], v[33:34], s[6:7], v[31:32]
	v_lshrrev_b32_e32 v27, 3, v124
	v_fma_f64 v[25:26], v[33:34], s[2:3], v[31:32]
	v_mul_lo_u32 v27, v27, 24
	ds_write_b128 v35, v[0:3]
	ds_write_b128 v35, v[4:7] offset:128
	ds_write_b128 v35, v[8:11] offset:256
	v_mul_lo_u16_sdwa v8, v118, s8 dst_sel:DWORD dst_unused:UNUSED_PAD src0_sel:BYTE_0 src1_sel:DWORD
	v_lshrrev_b16_e32 v34, 12, v8
	v_or_b32_e32 v0, v27, v28
	v_lshl_add_u32 v0, v0, 4, 0
	ds_write_b128 v0, v[12:15]
	ds_write_b128 v0, v[16:19] offset:128
	ds_write_b128 v0, v[23:26] offset:256
	v_mul_lo_u16_sdwa v0, v114, s8 dst_sel:DWORD dst_unused:UNUSED_PAD src0_sel:BYTE_0 src1_sel:DWORD
	v_lshrrev_b16_e32 v38, 12, v0
	v_mul_lo_u16_e32 v0, 24, v38
	v_sub_u16_e32 v39, v114, v0
	v_mov_b32_e32 v23, 5
	v_lshlrev_b32_sdwa v4, v23, v39 dst_sel:DWORD dst_unused:UNUSED_PAD src0_sel:DWORD src1_sel:BYTE_0
	s_waitcnt lgkmcnt(0)
	; wave barrier
	s_waitcnt lgkmcnt(0)
	global_load_dwordx4 v[0:3], v4, s[12:13] offset:352
	s_nop 0
	global_load_dwordx4 v[4:7], v4, s[12:13] offset:368
	v_mul_lo_u16_e32 v8, 24, v34
	v_sub_u16_e32 v33, v118, v8
	v_lshlrev_b32_sdwa v16, v23, v33 dst_sel:DWORD dst_unused:UNUSED_PAD src0_sel:DWORD src1_sel:BYTE_0
	global_load_dwordx4 v[8:11], v16, s[12:13] offset:352
	global_load_dwordx4 v[12:15], v16, s[12:13] offset:368
	v_mul_lo_u16_sdwa v16, v129, s8 dst_sel:DWORD dst_unused:UNUSED_PAD src0_sel:BYTE_0 src1_sel:DWORD
	v_lshrrev_b16_e32 v28, 12, v16
	v_mul_lo_u16_e32 v16, 24, v28
	v_sub_u16_e32 v29, v129, v16
	v_lshlrev_b32_sdwa v24, v23, v29 dst_sel:DWORD dst_unused:UNUSED_PAD src0_sel:DWORD src1_sel:BYTE_0
	global_load_dwordx4 v[16:19], v24, s[12:13] offset:352
	global_load_dwordx4 v[40:43], v24, s[12:13] offset:368
	v_mul_lo_u16_sdwa v24, v128, s8 dst_sel:DWORD dst_unused:UNUSED_PAD src0_sel:BYTE_0 src1_sel:DWORD
	v_lshrrev_b16_e32 v27, 12, v24
	v_mul_lo_u16_e32 v24, 24, v27
	v_sub_u16_e32 v26, v128, v24
	v_lshlrev_b32_sdwa v24, v23, v26 dst_sel:DWORD dst_unused:UNUSED_PAD src0_sel:DWORD src1_sel:BYTE_0
	global_load_dwordx4 v[44:47], v24, s[12:13] offset:352
	global_load_dwordx4 v[48:51], v24, s[12:13] offset:368
	s_mov_b32 s8, 0xaaab
	v_mul_u32_u24_sdwa v24, v127, s8 dst_sel:DWORD dst_unused:UNUSED_PAD src0_sel:WORD_0 src1_sel:DWORD
	v_lshrrev_b32_e32 v24, 20, v24
	v_mul_lo_u16_e32 v25, 24, v24
	v_sub_u16_e32 v25, v127, v25
	v_lshlrev_b32_e32 v30, 5, v25
	global_load_dwordx4 v[52:55], v30, s[12:13] offset:352
	global_load_dwordx4 v[56:59], v30, s[12:13] offset:368
	v_mul_u32_u24_sdwa v30, v126, s8 dst_sel:DWORD dst_unused:UNUSED_PAD src0_sel:WORD_0 src1_sel:DWORD
	v_lshrrev_b32_e32 v30, 20, v30
	v_mul_lo_u16_e32 v31, 24, v30
	v_sub_u16_e32 v31, v126, v31
	v_lshlrev_b32_e32 v32, 5, v31
	global_load_dwordx4 v[60:63], v32, s[12:13] offset:352
	global_load_dwordx4 v[64:67], v32, s[12:13] offset:368
	;; [unrolled: 7-line block ×3, first 2 shown]
	v_mul_u32_u24_sdwa v36, v124, s8 dst_sel:DWORD dst_unused:UNUSED_PAD src0_sel:WORD_0 src1_sel:DWORD
	v_lshrrev_b32_e32 v36, 20, v36
	v_mul_lo_u16_e32 v37, 24, v36
	v_sub_u16_e32 v37, v124, v37
	v_lshlrev_b32_e32 v84, 5, v37
	global_load_dwordx4 v[76:79], v84, s[12:13] offset:352
	ds_read_b128 v[80:83], v22
	global_load_dwordx4 v[84:87], v84, s[12:13] offset:368
	ds_read_b128 v[88:91], v21
	ds_read_b128 v[92:95], v137 offset:16128
	ds_read_b128 v[96:99], v137 offset:9072
	;; [unrolled: 1-line block ×3, first 2 shown]
	ds_read_b128 v[104:107], v137
	s_mov_b32 s8, 0xe38f
	s_waitcnt vmcnt(15) lgkmcnt(5)
	v_mul_f64 v[108:109], v[82:83], v[2:3]
	v_mul_f64 v[2:3], v[80:81], v[2:3]
	s_waitcnt vmcnt(14) lgkmcnt(3)
	v_mul_f64 v[110:111], v[94:95], v[6:7]
	v_mul_f64 v[6:7], v[92:93], v[6:7]
	;; [unrolled: 3-line block ×3, first 2 shown]
	v_fma_f64 v[108:109], v[80:81], v[0:1], v[108:109]
	v_fma_f64 v[151:152], v[82:83], v[0:1], -v[2:3]
	ds_read_b128 v[0:3], v137 offset:10080
	v_fma_f64 v[92:93], v[92:93], v[4:5], v[110:111]
	v_fma_f64 v[94:95], v[94:95], v[4:5], -v[6:7]
	v_fma_f64 v[96:97], v[96:97], v[8:9], v[149:150]
	v_fma_f64 v[98:99], v[98:99], v[8:9], -v[10:11]
	s_waitcnt vmcnt(12) lgkmcnt(2)
	v_mul_f64 v[110:111], v[102:103], v[14:15]
	ds_read_b128 v[4:7], v137 offset:18144
	ds_read_b128 v[8:11], v137 offset:11088
	s_waitcnt vmcnt(11) lgkmcnt(2)
	v_mul_f64 v[149:150], v[2:3], v[18:19]
	v_mul_f64 v[18:19], v[0:1], v[18:19]
	;; [unrolled: 1-line block ×3, first 2 shown]
	s_waitcnt vmcnt(10) lgkmcnt(1)
	v_mul_f64 v[153:154], v[6:7], v[42:43]
	v_mul_f64 v[42:43], v[4:5], v[42:43]
	s_waitcnt vmcnt(9) lgkmcnt(0)
	v_mul_f64 v[155:156], v[10:11], v[46:47]
	v_mul_f64 v[46:47], v[8:9], v[46:47]
	ds_read_b128 v[80:83], v137 offset:19152
	v_fma_f64 v[100:101], v[100:101], v[12:13], v[110:111]
	v_fma_f64 v[110:111], v[0:1], v[16:17], v[149:150]
	v_fma_f64 v[149:150], v[2:3], v[16:17], -v[18:19]
	ds_read_b128 v[0:3], v137 offset:12096
	v_fma_f64 v[153:154], v[4:5], v[40:41], v[153:154]
	v_fma_f64 v[157:158], v[6:7], v[40:41], -v[42:43]
	v_fma_f64 v[155:156], v[8:9], v[44:45], v[155:156]
	v_fma_f64 v[159:160], v[10:11], v[44:45], -v[46:47]
	s_waitcnt vmcnt(8) lgkmcnt(1)
	v_mul_f64 v[16:17], v[82:83], v[50:51]
	v_mul_f64 v[18:19], v[80:81], v[50:51]
	ds_read_b128 v[4:7], v137 offset:20160
	ds_read_b128 v[8:11], v137 offset:13104
	s_waitcnt vmcnt(7) lgkmcnt(2)
	v_mul_f64 v[40:41], v[2:3], v[54:55]
	v_mul_f64 v[42:43], v[0:1], v[54:55]
	v_fma_f64 v[102:103], v[102:103], v[12:13], -v[14:15]
	s_waitcnt vmcnt(6) lgkmcnt(1)
	v_mul_f64 v[44:45], v[6:7], v[58:59]
	v_mul_f64 v[46:47], v[4:5], v[58:59]
	s_waitcnt vmcnt(5) lgkmcnt(0)
	v_mul_f64 v[50:51], v[10:11], v[62:63]
	v_mul_f64 v[54:55], v[8:9], v[62:63]
	ds_read_b128 v[12:15], v137 offset:21168
	v_fma_f64 v[58:59], v[80:81], v[48:49], v[16:17]
	v_fma_f64 v[62:63], v[82:83], v[48:49], -v[18:19]
	v_fma_f64 v[80:81], v[0:1], v[52:53], v[40:41]
	v_fma_f64 v[82:83], v[2:3], v[52:53], -v[42:43]
	ds_read_b128 v[0:3], v137 offset:14112
	v_fma_f64 v[161:162], v[4:5], v[56:57], v[44:45]
	v_fma_f64 v[163:164], v[6:7], v[56:57], -v[46:47]
	v_fma_f64 v[165:166], v[8:9], v[60:61], v[50:51]
	v_fma_f64 v[60:61], v[10:11], v[60:61], -v[54:55]
	ds_read_b128 v[4:7], v137 offset:22176
	ds_read_b128 v[8:11], v137 offset:15120
	s_waitcnt vmcnt(3) lgkmcnt(2)
	v_mul_f64 v[44:45], v[2:3], v[70:71]
	v_mul_f64 v[40:41], v[14:15], v[66:67]
	;; [unrolled: 1-line block ×3, first 2 shown]
	s_waitcnt vmcnt(2) lgkmcnt(1)
	v_mul_f64 v[48:49], v[6:7], v[74:75]
	v_mul_f64 v[50:51], v[4:5], v[74:75]
	s_waitcnt vmcnt(1) lgkmcnt(0)
	v_mul_f64 v[52:53], v[10:11], v[78:79]
	v_mul_f64 v[46:47], v[0:1], v[70:71]
	ds_read_b128 v[16:19], v137 offset:23184
	v_fma_f64 v[70:71], v[0:1], v[68:69], v[44:45]
	v_add_f64 v[0:1], v[108:109], v[92:93]
	v_fma_f64 v[66:67], v[12:13], v[64:65], v[40:41]
	v_fma_f64 v[74:75], v[4:5], v[72:73], v[48:49]
	v_fma_f64 v[72:73], v[6:7], v[72:73], -v[50:51]
	v_fma_f64 v[167:168], v[8:9], v[76:77], v[52:53]
	v_mul_f64 v[4:5], v[8:9], v[78:79]
	s_waitcnt vmcnt(0) lgkmcnt(0)
	v_mul_f64 v[6:7], v[18:19], v[86:87]
	v_mul_f64 v[8:9], v[16:17], v[86:87]
	v_fma_f64 v[64:65], v[14:15], v[64:65], -v[42:43]
	v_fma_f64 v[68:69], v[2:3], v[68:69], -v[46:47]
	v_add_f64 v[2:3], v[151:152], v[94:95]
	v_fma_f64 v[12:13], v[0:1], -0.5, v[104:105]
	v_add_f64 v[0:1], v[106:107], v[151:152]
	v_add_f64 v[14:15], v[104:105], v[108:109]
	v_add_f64 v[40:41], v[151:152], -v[94:95]
	v_fma_f64 v[78:79], v[16:17], v[84:85], v[6:7]
	v_fma_f64 v[17:18], v[18:19], v[84:85], -v[8:9]
	v_add_f64 v[84:85], v[96:97], v[100:101]
	v_fma_f64 v[76:77], v[10:11], v[76:77], -v[4:5]
	v_mov_b32_e32 v4, 4
	v_fma_f64 v[42:43], v[2:3], -0.5, v[106:107]
	v_add_f64 v[2:3], v[0:1], v[94:95]
	v_add_f64 v[0:1], v[14:15], v[92:93]
	v_fma_f64 v[5:6], v[40:41], s[2:3], v[12:13]
	v_fma_f64 v[9:10], v[40:41], s[6:7], v[12:13]
	v_mul_u32_u24_e32 v13, 0x480, v38
	v_lshlrev_b32_sdwa v14, v4, v39 dst_sel:DWORD dst_unused:UNUSED_PAD src0_sel:DWORD src1_sel:BYTE_0
	v_add3_u32 v19, 0, v13, v14
	ds_read_b128 v[13:16], v143
	ds_read_b128 v[38:41], v142
	v_add_f64 v[44:45], v[108:109], -v[92:93]
	v_add_f64 v[86:87], v[98:99], v[102:103]
	v_add_f64 v[94:95], v[98:99], -v[102:103]
	s_waitcnt lgkmcnt(1)
	v_fma_f64 v[84:85], v[84:85], -0.5, v[13:14]
	v_add_f64 v[13:14], v[13:14], v[96:97]
	v_add_f64 v[92:93], v[15:16], v[98:99]
	v_lshlrev_b32_sdwa v33, v4, v33 dst_sel:DWORD dst_unused:UNUSED_PAD src0_sel:DWORD src1_sel:BYTE_0
	v_fma_f64 v[7:8], v[44:45], s[6:7], v[42:43]
	v_fma_f64 v[11:12], v[44:45], s[2:3], v[42:43]
	ds_read_b128 v[42:45], v141
	ds_read_b128 v[46:49], v140
	;; [unrolled: 1-line block ×4, first 2 shown]
	s_waitcnt lgkmcnt(0)
	; wave barrier
	s_waitcnt lgkmcnt(0)
	ds_write_b128 v19, v[0:3]
	v_fma_f64 v[15:16], v[86:87], -0.5, v[15:16]
	v_add_f64 v[86:87], v[96:97], -v[100:101]
	v_add_f64 v[0:1], v[13:14], v[100:101]
	v_add_f64 v[13:14], v[110:111], v[153:154]
	ds_write_b128 v19, v[5:8] offset:384
	ds_write_b128 v19, v[9:12] offset:768
	v_add_f64 v[2:3], v[92:93], v[102:103]
	v_fma_f64 v[5:6], v[94:95], s[2:3], v[84:85]
	v_fma_f64 v[9:10], v[94:95], s[6:7], v[84:85]
	v_mul_u32_u24_e32 v19, 0x480, v34
	v_fma_f64 v[7:8], v[86:87], s[6:7], v[15:16]
	v_fma_f64 v[11:12], v[86:87], s[2:3], v[15:16]
	v_add_f64 v[15:16], v[149:150], v[157:158]
	v_fma_f64 v[13:14], v[13:14], -0.5, v[38:39]
	v_add_f64 v[84:85], v[149:150], -v[157:158]
	v_add3_u32 v19, 0, v19, v33
	v_add_f64 v[33:34], v[40:41], v[149:150]
	v_add_f64 v[38:39], v[38:39], v[110:111]
	ds_write_b128 v19, v[0:3]
	ds_write_b128 v19, v[5:8] offset:384
	ds_write_b128 v19, v[9:12] offset:768
	v_fma_f64 v[15:16], v[15:16], -0.5, v[40:41]
	v_add_f64 v[40:41], v[110:111], -v[153:154]
	v_fma_f64 v[5:6], v[84:85], s[2:3], v[13:14]
	v_fma_f64 v[9:10], v[84:85], s[6:7], v[13:14]
	v_add_f64 v[13:14], v[159:160], v[62:63]
	v_add_f64 v[2:3], v[33:34], v[157:158]
	;; [unrolled: 1-line block ×4, first 2 shown]
	v_add_f64 v[38:39], v[159:160], -v[62:63]
	v_fma_f64 v[7:8], v[40:41], s[6:7], v[15:16]
	v_fma_f64 v[11:12], v[40:41], s[2:3], v[15:16]
	v_mul_u32_u24_e32 v15, 0x480, v28
	v_lshlrev_b32_sdwa v16, v4, v29 dst_sel:DWORD dst_unused:UNUSED_PAD src0_sel:DWORD src1_sel:BYTE_0
	v_add_f64 v[28:29], v[44:45], v[159:160]
	v_fma_f64 v[13:14], v[13:14], -0.5, v[44:45]
	v_add_f64 v[40:41], v[155:156], -v[58:59]
	v_add3_u32 v19, 0, v15, v16
	v_fma_f64 v[15:16], v[33:34], -0.5, v[42:43]
	v_add_f64 v[33:34], v[42:43], v[155:156]
	ds_write_b128 v19, v[0:3]
	ds_write_b128 v19, v[5:8] offset:384
	ds_write_b128 v19, v[9:12] offset:768
	v_add_f64 v[2:3], v[28:29], v[62:63]
	v_add_f64 v[28:29], v[80:81], v[161:162]
	v_fma_f64 v[7:8], v[40:41], s[6:7], v[13:14]
	v_fma_f64 v[11:12], v[40:41], s[2:3], v[13:14]
	v_add_f64 v[13:14], v[82:83], v[163:164]
	v_add_f64 v[0:1], v[33:34], v[58:59]
	v_fma_f64 v[5:6], v[38:39], s[2:3], v[15:16]
	v_fma_f64 v[9:10], v[38:39], s[6:7], v[15:16]
	v_mul_u32_u24_e32 v15, 0x480, v27
	v_lshlrev_b32_sdwa v16, v4, v26 dst_sel:DWORD dst_unused:UNUSED_PAD src0_sel:DWORD src1_sel:BYTE_0
	v_add_f64 v[26:27], v[48:49], v[82:83]
	v_add3_u32 v19, 0, v15, v16
	v_fma_f64 v[15:16], v[28:29], -0.5, v[46:47]
	v_add_f64 v[33:34], v[82:83], -v[163:164]
	v_fma_f64 v[13:14], v[13:14], -0.5, v[48:49]
	v_add_f64 v[38:39], v[80:81], -v[161:162]
	v_add_f64 v[28:29], v[46:47], v[80:81]
	ds_write_b128 v19, v[0:3]
	v_add_f64 v[2:3], v[26:27], v[163:164]
	v_add_f64 v[26:27], v[165:166], v[66:67]
	ds_write_b128 v19, v[5:8] offset:384
	ds_write_b128 v19, v[9:12] offset:768
	v_fma_f64 v[5:6], v[33:34], s[2:3], v[15:16]
	v_fma_f64 v[9:10], v[33:34], s[6:7], v[15:16]
	;; [unrolled: 1-line block ×4, first 2 shown]
	v_add_f64 v[13:14], v[60:61], v[64:65]
	v_mul_u32_u24_e32 v15, 0x480, v24
	v_lshlrev_b32_e32 v16, 4, v25
	v_add_f64 v[0:1], v[28:29], v[161:162]
	v_add3_u32 v19, 0, v15, v16
	v_fma_f64 v[15:16], v[26:27], -0.5, v[50:51]
	v_add_f64 v[28:29], v[60:61], -v[64:65]
	v_add_f64 v[24:25], v[52:53], v[60:61]
	v_add_f64 v[26:27], v[50:51], v[165:166]
	v_fma_f64 v[13:14], v[13:14], -0.5, v[52:53]
	v_add_f64 v[33:34], v[165:166], -v[66:67]
	ds_write_b128 v19, v[0:3]
	ds_write_b128 v19, v[5:8] offset:384
	ds_write_b128 v19, v[9:12] offset:768
	v_mul_u32_u24_e32 v19, 0x480, v30
	v_fma_f64 v[5:6], v[28:29], s[2:3], v[15:16]
	v_fma_f64 v[9:10], v[28:29], s[6:7], v[15:16]
	v_add_f64 v[15:16], v[70:71], v[74:75]
	v_add_f64 v[2:3], v[24:25], v[64:65]
	;; [unrolled: 1-line block ×3, first 2 shown]
	v_fma_f64 v[7:8], v[33:34], s[6:7], v[13:14]
	v_fma_f64 v[11:12], v[33:34], s[2:3], v[13:14]
	v_add_f64 v[13:14], v[68:69], v[72:73]
	v_add_f64 v[26:27], v[68:69], -v[72:73]
	v_lshlrev_b32_e32 v24, 4, v31
	v_fma_f64 v[15:16], v[15:16], -0.5, v[54:55]
	v_add3_u32 v19, 0, v19, v24
	ds_write_b128 v19, v[0:3]
	v_add_f64 v[0:1], v[56:57], v[68:69]
	v_add_f64 v[24:25], v[54:55], v[70:71]
	v_fma_f64 v[13:14], v[13:14], -0.5, v[56:57]
	v_add_f64 v[28:29], v[70:71], -v[74:75]
	ds_write_b128 v19, v[5:8] offset:384
	ds_write_b128 v19, v[9:12] offset:768
	v_add_f64 v[30:31], v[167:168], v[78:79]
	v_fma_f64 v[5:6], v[26:27], s[2:3], v[15:16]
	v_fma_f64 v[9:10], v[26:27], s[6:7], v[15:16]
	v_add_f64 v[15:16], v[76:77], v[17:18]
	v_add_f64 v[2:3], v[0:1], v[72:73]
	;; [unrolled: 1-line block ×3, first 2 shown]
	v_fma_f64 v[7:8], v[28:29], s[6:7], v[13:14]
	v_fma_f64 v[11:12], v[28:29], s[2:3], v[13:14]
	v_add_f64 v[13:14], v[90:91], v[76:77]
	v_add_f64 v[26:27], v[88:89], v[167:168]
	v_fma_f64 v[24:25], v[30:31], -0.5, v[88:89]
	v_add_f64 v[28:29], v[76:77], -v[17:18]
	v_fma_f64 v[30:31], v[15:16], -0.5, v[90:91]
	v_add_f64 v[33:34], v[167:168], -v[78:79]
	v_mul_u32_u24_e32 v19, 0x480, v35
	v_lshlrev_b32_e32 v15, 4, v32
	v_add3_u32 v19, 0, v19, v15
	ds_write_b128 v19, v[0:3]
	v_add_f64 v[2:3], v[13:14], v[17:18]
	v_add_f64 v[0:1], v[26:27], v[78:79]
	v_fma_f64 v[13:14], v[28:29], s[2:3], v[24:25]
	v_fma_f64 v[15:16], v[33:34], s[6:7], v[30:31]
	;; [unrolled: 1-line block ×4, first 2 shown]
	ds_write_b128 v19, v[5:8] offset:384
	ds_write_b128 v19, v[9:12] offset:768
	v_mul_u32_u24_e32 v5, 0x480, v36
	v_lshlrev_b32_e32 v6, 4, v37
	v_add3_u32 v5, 0, v5, v6
	ds_write_b128 v5, v[0:3]
	ds_write_b128 v5, v[13:16] offset:384
	ds_write_b128 v5, v[24:27] offset:768
	v_lshlrev_b64 v[0:1], 4, v[130:131]
	v_mov_b32_e32 v2, s13
	v_add_co_u32_e32 v0, vcc, s12, v0
	v_addc_co_u32_e32 v1, vcc, v2, v1, vcc
	s_waitcnt lgkmcnt(0)
	; wave barrier
	s_waitcnt lgkmcnt(0)
	global_load_dwordx4 v[24:27], v[0:1], off offset:1120
	global_load_dwordx4 v[28:31], v[0:1], off offset:1136
	v_add_u32_e32 v0, -9, v114
	v_cmp_gt_u32_e32 vcc, 9, v114
	v_cndmask_b32_e32 v12, v0, v118, vcc
	v_lshlrev_b32_e32 v130, 1, v12
	v_lshlrev_b64 v[0:1], 4, v[130:131]
	v_lshlrev_b32_e32 v12, 4, v12
	v_add_co_u32_e32 v0, vcc, s12, v0
	v_addc_co_u32_e32 v1, vcc, v2, v1, vcc
	global_load_dwordx4 v[32:35], v[0:1], off offset:1120
	global_load_dwordx4 v[36:39], v[0:1], off offset:1136
	v_mov_b32_e32 v0, 57
	v_mul_lo_u16_sdwa v1, v129, v0 dst_sel:DWORD dst_unused:UNUSED_PAD src0_sel:BYTE_0 src1_sel:DWORD
	v_lshrrev_b16_e32 v11, 12, v1
	v_mul_lo_u16_e32 v1, 0x48, v11
	v_sub_u16_e32 v10, v129, v1
	v_lshlrev_b32_sdwa v1, v23, v10 dst_sel:DWORD dst_unused:UNUSED_PAD src0_sel:DWORD src1_sel:BYTE_0
	global_load_dwordx4 v[40:43], v1, s[12:13] offset:1120
	global_load_dwordx4 v[44:47], v1, s[12:13] offset:1136
	v_mul_lo_u16_sdwa v0, v128, v0 dst_sel:DWORD dst_unused:UNUSED_PAD src0_sel:BYTE_0 src1_sel:DWORD
	v_lshrrev_b16_e32 v7, 12, v0
	v_mul_lo_u16_e32 v0, 0x48, v7
	v_sub_u16_e32 v9, v128, v0
	v_lshlrev_b32_sdwa v0, v23, v9 dst_sel:DWORD dst_unused:UNUSED_PAD src0_sel:DWORD src1_sel:BYTE_0
	global_load_dwordx4 v[48:51], v0, s[12:13] offset:1120
	global_load_dwordx4 v[52:55], v0, s[12:13] offset:1136
	v_mul_u32_u24_sdwa v0, v127, s8 dst_sel:DWORD dst_unused:UNUSED_PAD src0_sel:WORD_0 src1_sel:DWORD
	v_lshrrev_b32_e32 v5, 22, v0
	v_mul_lo_u16_e32 v0, 0x48, v5
	v_sub_u16_e32 v6, v127, v0
	v_lshlrev_b32_e32 v0, 5, v6
	global_load_dwordx4 v[56:59], v0, s[12:13] offset:1120
	global_load_dwordx4 v[60:63], v0, s[12:13] offset:1136
	v_mul_u32_u24_sdwa v0, v126, s8 dst_sel:DWORD dst_unused:UNUSED_PAD src0_sel:WORD_0 src1_sel:DWORD
	v_lshrrev_b32_e32 v13, 22, v0
	v_mul_lo_u16_e32 v0, 0x48, v13
	v_sub_u16_e32 v8, v126, v0
	v_lshlrev_b32_e32 v0, 5, v8
	;; [unrolled: 7-line block ×4, first 2 shown]
	global_load_dwordx4 v[80:83], v0, s[12:13] offset:1120
	global_load_dwordx4 v[84:87], v0, s[12:13] offset:1136
	ds_read_b128 v[88:91], v22
	ds_read_b128 v[0:3], v21
	ds_read_b128 v[92:95], v137 offset:16128
	ds_read_b128 v[96:99], v137 offset:9072
	;; [unrolled: 1-line block ×3, first 2 shown]
	ds_read_b128 v[104:107], v137
	v_cmp_lt_u32_e32 vcc, 8, v114
	v_lshlrev_b32_sdwa v10, v4, v10 dst_sel:DWORD dst_unused:UNUSED_PAD src0_sel:DWORD src1_sel:BYTE_0
	v_lshlrev_b32_sdwa v4, v4, v9 dst_sel:DWORD dst_unused:UNUSED_PAD src0_sel:DWORD src1_sel:BYTE_0
	v_mul_u32_u24_e32 v7, 0xd80, v7
	v_add3_u32 v4, 0, v7, v4
	v_mul_u32_u24_e32 v13, 0xd80, v13
	v_lshlrev_b32_e32 v8, 4, v8
	s_waitcnt vmcnt(15) lgkmcnt(5)
	v_mul_f64 v[17:18], v[90:91], v[26:27]
	v_mul_f64 v[21:22], v[88:89], v[26:27]
	s_waitcnt vmcnt(14) lgkmcnt(3)
	v_mul_f64 v[26:27], v[94:95], v[30:31]
	v_mul_f64 v[30:31], v[92:93], v[30:31]
	v_fma_f64 v[17:18], v[88:89], v[24:25], v[17:18]
	v_fma_f64 v[110:111], v[90:91], v[24:25], -v[21:22]
	ds_read_b128 v[21:24], v137 offset:10080
	s_waitcnt vmcnt(13) lgkmcnt(3)
	v_mul_f64 v[108:109], v[98:99], v[34:35]
	v_fma_f64 v[149:150], v[92:93], v[28:29], v[26:27]
	v_fma_f64 v[151:152], v[94:95], v[28:29], -v[30:31]
	v_mul_f64 v[29:30], v[96:97], v[34:35]
	ds_read_b128 v[25:28], v137 offset:18144
	ds_read_b128 v[88:91], v137 offset:11088
	s_waitcnt vmcnt(12) lgkmcnt(4)
	v_mul_f64 v[34:35], v[102:103], v[38:39]
	v_mul_f64 v[38:39], v[100:101], v[38:39]
	ds_read_b128 v[92:95], v137 offset:19152
	v_fma_f64 v[96:97], v[96:97], v[32:33], v[108:109]
	s_waitcnt vmcnt(11) lgkmcnt(3)
	v_mul_f64 v[108:109], v[23:24], v[42:43]
	v_mul_f64 v[42:43], v[21:22], v[42:43]
	s_waitcnt vmcnt(10) lgkmcnt(2)
	v_mul_f64 v[153:154], v[27:28], v[46:47]
	v_mul_f64 v[46:47], v[25:26], v[46:47]
	v_fma_f64 v[98:99], v[98:99], v[32:33], -v[29:30]
	s_waitcnt vmcnt(9) lgkmcnt(1)
	v_mul_f64 v[29:30], v[90:91], v[50:51]
	v_fma_f64 v[100:101], v[100:101], v[36:37], v[34:35]
	v_fma_f64 v[102:103], v[102:103], v[36:37], -v[38:39]
	v_fma_f64 v[108:109], v[21:22], v[40:41], v[108:109]
	v_fma_f64 v[155:156], v[23:24], v[40:41], -v[42:43]
	ds_read_b128 v[21:24], v137 offset:12096
	v_fma_f64 v[153:154], v[25:26], v[44:45], v[153:154]
	v_fma_f64 v[157:158], v[27:28], v[44:45], -v[46:47]
	v_mul_f64 v[37:38], v[88:89], v[50:51]
	s_waitcnt vmcnt(8) lgkmcnt(1)
	v_mul_f64 v[39:40], v[94:95], v[54:55]
	v_mul_f64 v[41:42], v[92:93], v[54:55]
	s_waitcnt vmcnt(7) lgkmcnt(0)
	v_mul_f64 v[43:44], v[23:24], v[58:59]
	v_mul_f64 v[45:46], v[21:22], v[58:59]
	v_fma_f64 v[88:89], v[88:89], v[48:49], v[29:30]
	ds_read_b128 v[25:28], v137 offset:20160
	ds_read_b128 v[29:32], v137 offset:13104
	ds_read_b128 v[33:36], v137 offset:21168
	s_waitcnt vmcnt(6) lgkmcnt(2)
	v_mul_f64 v[50:51], v[27:28], v[62:63]
	v_mul_f64 v[54:55], v[25:26], v[62:63]
	v_fma_f64 v[62:63], v[90:91], v[48:49], -v[37:38]
	v_fma_f64 v[90:91], v[92:93], v[52:53], v[39:40]
	v_fma_f64 v[92:93], v[94:95], v[52:53], -v[41:42]
	v_fma_f64 v[94:95], v[21:22], v[56:57], v[43:44]
	v_fma_f64 v[159:160], v[23:24], v[56:57], -v[45:46]
	ds_read_b128 v[21:24], v137 offset:14112
	s_waitcnt vmcnt(5) lgkmcnt(2)
	v_mul_f64 v[37:38], v[31:32], v[66:67]
	v_mul_f64 v[41:42], v[29:30], v[66:67]
	v_fma_f64 v[161:162], v[25:26], v[60:61], v[50:51]
	v_fma_f64 v[163:164], v[27:28], v[60:61], -v[54:55]
	s_waitcnt vmcnt(3) lgkmcnt(0)
	v_mul_f64 v[47:48], v[23:24], v[74:75]
	v_mul_f64 v[43:44], v[35:36], v[70:71]
	;; [unrolled: 1-line block ×3, first 2 shown]
	v_add_f64 v[53:54], v[96:97], -v[100:101]
	v_fma_f64 v[66:67], v[29:30], v[64:65], v[37:38]
	ds_read_b128 v[25:28], v137 offset:15120
	ds_read_b128 v[37:40], v137 offset:22176
	v_fma_f64 v[64:65], v[31:32], v[64:65], -v[41:42]
	v_mul_f64 v[41:42], v[21:22], v[74:75]
	v_fma_f64 v[74:75], v[21:22], v[72:73], v[47:48]
	s_waitcnt vmcnt(1) lgkmcnt(1)
	v_mul_f64 v[21:22], v[27:28], v[82:83]
	s_waitcnt lgkmcnt(0)
	v_mul_f64 v[49:50], v[39:40], v[78:79]
	v_mul_f64 v[51:52], v[37:38], v[78:79]
	ds_read_b128 v[29:32], v137 offset:23184
	v_fma_f64 v[70:71], v[33:34], v[68:69], v[43:44]
	v_fma_f64 v[68:69], v[35:36], v[68:69], -v[45:46]
	v_fma_f64 v[72:73], v[23:24], v[72:73], -v[41:42]
	v_mul_f64 v[23:24], v[25:26], v[82:83]
	v_fma_f64 v[82:83], v[25:26], v[80:81], v[21:22]
	v_add_f64 v[21:22], v[110:111], v[151:152]
	v_add_f64 v[25:26], v[104:105], v[17:18]
	v_fma_f64 v[78:79], v[37:38], v[76:77], v[49:50]
	v_fma_f64 v[76:77], v[39:40], v[76:77], -v[51:52]
	v_add_f64 v[37:38], v[17:18], v[149:150]
	v_add_f64 v[41:42], v[96:97], v[100:101]
	v_fma_f64 v[80:81], v[27:28], v[80:81], -v[23:24]
	v_add_f64 v[23:24], v[106:107], v[110:111]
	v_fma_f64 v[39:40], v[21:22], -0.5, v[106:107]
	v_add_f64 v[21:22], v[25:26], v[149:150]
	ds_read_b128 v[25:28], v143
	s_waitcnt vmcnt(0) lgkmcnt(1)
	v_mul_f64 v[33:34], v[31:32], v[86:87]
	v_mul_f64 v[35:36], v[29:30], v[86:87]
	v_add_f64 v[43:44], v[98:99], v[102:103]
	v_add_f64 v[17:18], v[17:18], -v[149:150]
	v_add_f64 v[23:24], v[23:24], v[151:152]
	s_waitcnt lgkmcnt(0)
	v_fma_f64 v[45:46], v[41:42], -0.5, v[25:26]
	v_add_f64 v[41:42], v[27:28], v[98:99]
	v_add_f64 v[47:48], v[25:26], v[96:97]
	v_fma_f64 v[86:87], v[29:30], v[84:85], v[33:34]
	v_fma_f64 v[84:85], v[31:32], v[84:85], -v[35:36]
	v_fma_f64 v[31:32], v[37:38], -0.5, v[104:105]
	v_add_f64 v[37:38], v[110:111], -v[151:152]
	v_add_f64 v[49:50], v[98:99], -v[102:103]
	v_fma_f64 v[51:52], v[43:44], -0.5, v[27:28]
	v_fma_f64 v[27:28], v[17:18], s[2:3], v[39:40]
	ds_read_b128 v[33:36], v142
	v_fma_f64 v[29:30], v[37:38], s[2:3], v[31:32]
	v_fma_f64 v[25:26], v[37:38], s[6:7], v[31:32]
	;; [unrolled: 1-line block ×3, first 2 shown]
	v_add_f64 v[39:40], v[41:42], v[102:103]
	v_add_f64 v[37:38], v[47:48], v[100:101]
	v_fma_f64 v[41:42], v[49:50], s[2:3], v[45:46]
	v_fma_f64 v[45:46], v[49:50], s[6:7], v[45:46]
	;; [unrolled: 1-line block ×4, first 2 shown]
	ds_read_b128 v[17:20], v20
	ds_read_b128 v[49:52], v139
	;; [unrolled: 1-line block ×4, first 2 shown]
	s_waitcnt lgkmcnt(0)
	; wave barrier
	s_waitcnt lgkmcnt(0)
	ds_write_b128 v137, v[21:24]
	ds_write_b128 v137, v[29:32] offset:1152
	v_mov_b32_e32 v23, 0xd80
	v_add_f64 v[21:22], v[108:109], v[153:154]
	ds_write_b128 v137, v[25:28] offset:2304
	v_cndmask_b32_e32 v25, 0, v23, vcc
	v_add_f64 v[23:24], v[155:156], v[157:158]
	v_add3_u32 v12, 0, v25, v12
	v_add_f64 v[25:26], v[33:34], v[108:109]
	v_add_f64 v[29:30], v[155:156], -v[157:158]
	ds_write_b128 v12, v[37:40]
	v_fma_f64 v[27:28], v[21:22], -0.5, v[33:34]
	v_add_f64 v[21:22], v[35:36], v[155:156]
	v_add_f64 v[33:34], v[108:109], -v[153:154]
	v_fma_f64 v[31:32], v[23:24], -0.5, v[35:36]
	v_add_f64 v[35:36], v[88:89], v[90:91]
	ds_write_b128 v12, v[41:44] offset:1152
	ds_write_b128 v12, v[45:48] offset:2304
	v_add_f64 v[37:38], v[53:54], v[88:89]
	v_add_f64 v[39:40], v[62:63], -v[92:93]
	v_add_f64 v[41:42], v[88:89], -v[90:91]
	v_add_f64 v[23:24], v[21:22], v[157:158]
	v_add_f64 v[21:22], v[25:26], v[153:154]
	v_fma_f64 v[25:26], v[29:30], s[2:3], v[27:28]
	v_fma_f64 v[29:30], v[29:30], s[6:7], v[27:28]
	;; [unrolled: 1-line block ×4, first 2 shown]
	v_mul_u32_u24_e32 v33, 0xd80, v11
	v_add_f64 v[11:12], v[62:63], v[92:93]
	v_add3_u32 v43, 0, v33, v10
	v_fma_f64 v[33:34], v[35:36], -0.5, v[53:54]
	v_add_f64 v[35:36], v[55:56], v[62:63]
	ds_write_b128 v43, v[21:24]
	ds_write_b128 v43, v[25:28] offset:1152
	ds_write_b128 v43, v[29:32] offset:2304
	v_add_f64 v[21:22], v[37:38], v[90:91]
	v_add_f64 v[37:38], v[159:160], -v[163:164]
	v_fma_f64 v[10:11], v[11:12], -0.5, v[55:56]
	v_cmp_gt_u32_e32 vcc, 27, v114
	v_fma_f64 v[25:26], v[39:40], s[2:3], v[33:34]
	v_add_f64 v[23:24], v[35:36], v[92:93]
	v_add_f64 v[35:36], v[94:95], v[161:162]
	v_fma_f64 v[29:30], v[39:40], s[6:7], v[33:34]
	v_fma_f64 v[27:28], v[41:42], s[6:7], v[10:11]
	;; [unrolled: 1-line block ×3, first 2 shown]
	v_add_f64 v[9:10], v[159:160], v[163:164]
	v_add_f64 v[11:12], v[59:60], v[159:160]
	v_fma_f64 v[33:34], v[35:36], -0.5, v[57:58]
	v_add_f64 v[35:36], v[57:58], v[94:95]
	ds_write_b128 v4, v[21:24]
	v_add_f64 v[41:42], v[94:95], -v[161:162]
	ds_write_b128 v4, v[25:28] offset:1152
	ds_write_b128 v4, v[29:32] offset:2304
	v_add_f64 v[29:30], v[66:67], v[70:71]
	v_fma_f64 v[39:40], v[9:10], -0.5, v[59:60]
	v_add_f64 v[31:32], v[64:65], v[68:69]
	v_mul_u32_u24_e32 v4, 0xd80, v5
	v_lshlrev_b32_e32 v5, 4, v6
	v_add_f64 v[11:12], v[11:12], v[163:164]
	v_add_f64 v[9:10], v[35:36], v[161:162]
	v_fma_f64 v[21:22], v[37:38], s[2:3], v[33:34]
	v_fma_f64 v[25:26], v[37:38], s[6:7], v[33:34]
	v_add3_u32 v6, 0, v4, v5
	v_add_f64 v[4:5], v[51:52], v[64:65]
	v_add_f64 v[33:34], v[49:50], v[66:67]
	v_fma_f64 v[23:24], v[41:42], s[6:7], v[39:40]
	v_fma_f64 v[29:30], v[29:30], -0.5, v[49:50]
	v_add_f64 v[35:36], v[64:65], -v[68:69]
	v_fma_f64 v[31:32], v[31:32], -0.5, v[51:52]
	v_add_f64 v[37:38], v[66:67], -v[70:71]
	v_fma_f64 v[27:28], v[41:42], s[2:3], v[39:40]
	ds_write_b128 v6, v[9:12]
	ds_write_b128 v6, v[21:24] offset:1152
	ds_write_b128 v6, v[25:28] offset:2304
	v_add_f64 v[6:7], v[4:5], v[68:69]
	v_add_f64 v[4:5], v[33:34], v[70:71]
	v_fma_f64 v[9:10], v[35:36], s[2:3], v[29:30]
	v_fma_f64 v[11:12], v[37:38], s[6:7], v[31:32]
	;; [unrolled: 1-line block ×3, first 2 shown]
	v_add_f64 v[25:26], v[74:75], v[78:79]
	v_add3_u32 v31, 0, v13, v8
	v_add_f64 v[27:28], v[72:73], v[76:77]
	ds_write_b128 v31, v[4:7]
	ds_write_b128 v31, v[9:12] offset:1152
	v_add_f64 v[4:5], v[19:20], v[72:73]
	v_fma_f64 v[21:22], v[35:36], s[6:7], v[29:30]
	v_add_f64 v[6:7], v[17:18], v[74:75]
	v_fma_f64 v[8:9], v[25:26], -0.5, v[17:18]
	v_add_f64 v[10:11], v[72:73], -v[76:77]
	v_add_f64 v[29:30], v[82:83], v[86:87]
	v_fma_f64 v[12:13], v[27:28], -0.5, v[19:20]
	v_add_f64 v[27:28], v[74:75], -v[78:79]
	v_add_f64 v[19:20], v[4:5], v[76:77]
	v_add_f64 v[4:5], v[80:81], v[84:85]
	ds_write_b128 v31, v[21:24] offset:2304
	v_add_f64 v[17:18], v[6:7], v[78:79]
	v_fma_f64 v[21:22], v[10:11], s[2:3], v[8:9]
	v_fma_f64 v[25:26], v[10:11], s[6:7], v[8:9]
	v_fma_f64 v[6:7], v[29:30], -0.5, v[0:1]
	v_add_f64 v[8:9], v[2:3], v[80:81]
	v_add_f64 v[0:1], v[0:1], v[82:83]
	v_add_f64 v[10:11], v[80:81], -v[84:85]
	v_fma_f64 v[29:30], v[4:5], -0.5, v[2:3]
	v_add_f64 v[31:32], v[82:83], -v[86:87]
	v_fma_f64 v[23:24], v[27:28], s[6:7], v[12:13]
	v_fma_f64 v[27:28], v[27:28], s[2:3], v[12:13]
	v_mul_u32_u24_e32 v12, 0xd80, v14
	v_add_f64 v[2:3], v[8:9], v[84:85]
	v_add_f64 v[0:1], v[0:1], v[86:87]
	v_fma_f64 v[4:5], v[10:11], s[2:3], v[6:7]
	v_fma_f64 v[8:9], v[10:11], s[6:7], v[6:7]
	;; [unrolled: 1-line block ×4, first 2 shown]
	v_lshlrev_b32_e32 v13, 4, v15
	v_add3_u32 v12, 0, v12, v13
	ds_write_b128 v12, v[17:20]
	ds_write_b128 v12, v[21:24] offset:1152
	ds_write_b128 v12, v[25:28] offset:2304
	v_lshl_add_u32 v12, v16, 4, 0
	ds_write_b128 v12, v[0:3] offset:20736
	ds_write_b128 v12, v[4:7] offset:21888
	;; [unrolled: 1-line block ×3, first 2 shown]
	s_waitcnt lgkmcnt(0)
	; wave barrier
	s_waitcnt lgkmcnt(0)
	ds_read_b128 v[40:43], v137
	ds_read_b128 v[100:103], v137 offset:3456
	ds_read_b128 v[96:99], v137 offset:6912
	;; [unrolled: 1-line block ×7, first 2 shown]
	ds_read_b128 v[28:31], v142
	ds_read_b128 v[80:83], v137 offset:4464
	ds_read_b128 v[48:51], v137 offset:5472
	;; [unrolled: 1-line block ×10, first 2 shown]
	ds_read_b128 v[32:35], v143
	ds_read_b128 v[36:39], v137 offset:22752
                                        ; implicit-def: $vgpr26_vgpr27
                                        ; implicit-def: $vgpr22_vgpr23
                                        ; implicit-def: $vgpr18_vgpr19
                                        ; implicit-def: $vgpr14_vgpr15
	s_and_saveexec_b64 s[2:3], vcc
	s_cbranch_execz .LBB0_15
; %bb.14:
	ds_read_b128 v[0:3], v141
	ds_read_b128 v[4:7], v137 offset:6480
	ds_read_b128 v[8:11], v137 offset:9936
	;; [unrolled: 1-line block ×6, first 2 shown]
.LBB0_15:
	s_or_b64 exec, exec, s[2:3]
	v_mul_u32_u24_e32 v130, 6, v114
	v_lshlrev_b32_e32 v130, 4, v130
	global_load_dwordx4 v[149:152], v130, s[12:13] offset:3440
	global_load_dwordx4 v[153:156], v130, s[12:13] offset:3424
	;; [unrolled: 1-line block ×6, first 2 shown]
	v_mul_i32_i24_e32 v130, 6, v118
	v_lshlrev_b64 v[173:174], 4, v[130:131]
	v_mul_i32_i24_e32 v130, 6, v129
	v_mov_b32_e32 v197, s13
	v_add_co_u32_e64 v193, s[2:3], s12, v173
	v_lshlrev_b64 v[130:131], 4, v[130:131]
	v_addc_co_u32_e64 v194, s[2:3], v197, v174, s[2:3]
	v_add_co_u32_e64 v130, s[2:3], s12, v130
	v_addc_co_u32_e64 v131, s[2:3], v197, v131, s[2:3]
	global_load_dwordx4 v[173:176], v[193:194], off offset:3424
	global_load_dwordx4 v[177:180], v[193:194], off offset:3440
	;; [unrolled: 1-line block ×5, first 2 shown]
	s_nop 0
	global_load_dwordx4 v[193:196], v[193:194], off offset:3488
	s_nop 0
	global_load_dwordx4 v[197:200], v[130:131], off offset:3424
	global_load_dwordx4 v[201:204], v[130:131], off offset:3440
	;; [unrolled: 1-line block ×6, first 2 shown]
	s_mov_b32 s14, 0x37e14327
	s_mov_b32 s8, 0x36b3c0b5
	;; [unrolled: 1-line block ×20, first 2 shown]
	s_waitcnt lgkmcnt(0)
	; wave barrier
	s_waitcnt vmcnt(17) lgkmcnt(0)
	v_mul_f64 v[221:222], v[98:99], v[151:152]
	s_waitcnt vmcnt(16)
	v_mul_f64 v[130:131], v[102:103], v[155:156]
	v_mul_f64 v[155:156], v[100:101], v[155:156]
	;; [unrolled: 1-line block ×3, first 2 shown]
	s_waitcnt vmcnt(13)
	v_mul_f64 v[229:230], v[78:79], v[167:168]
	s_waitcnt vmcnt(12)
	v_mul_f64 v[227:228], v[110:111], v[171:172]
	v_mul_f64 v[171:172], v[108:109], v[171:172]
	;; [unrolled: 1-line block ×7, first 2 shown]
	v_fma_f64 v[100:101], v[100:101], v[153:154], v[130:131]
	v_fma_f64 v[102:103], v[102:103], v[153:154], -v[155:156]
	v_fma_f64 v[96:97], v[96:97], v[149:150], v[221:222]
	s_waitcnt vmcnt(5)
	v_mul_f64 v[243:244], v[50:51], v[199:200]
	v_mul_f64 v[199:200], v[48:49], v[199:200]
	s_waitcnt vmcnt(3)
	v_mul_f64 v[247:248], v[58:59], v[207:208]
	v_mul_f64 v[207:208], v[56:57], v[207:208]
	v_fma_f64 v[98:99], v[98:99], v[149:150], -v[151:152]
	v_fma_f64 v[108:109], v[108:109], v[169:170], v[227:228]
	v_fma_f64 v[110:111], v[110:111], v[169:170], -v[171:172]
	v_fma_f64 v[76:77], v[76:77], v[165:166], v[229:230]
	v_fma_f64 v[78:79], v[78:79], v[165:166], -v[167:168]
	v_mul_f64 v[245:246], v[54:55], v[203:204]
	v_mul_f64 v[203:204], v[52:53], v[203:204]
	s_waitcnt vmcnt(2)
	v_mul_f64 v[249:250], v[62:63], v[211:212]
	v_mul_f64 v[211:212], v[60:61], v[211:212]
	s_waitcnt vmcnt(1)
	v_mul_f64 v[251:252], v[66:67], v[215:216]
	v_mul_f64 v[215:216], v[64:65], v[215:216]
	v_fma_f64 v[104:105], v[104:105], v[161:162], v[223:224]
	v_fma_f64 v[106:107], v[106:107], v[161:162], -v[163:164]
	v_fma_f64 v[92:93], v[92:93], v[157:158], v[225:226]
	v_fma_f64 v[94:95], v[94:95], v[157:158], -v[159:160]
	v_fma_f64 v[151:152], v[48:49], v[197:198], v[243:244]
	v_fma_f64 v[153:154], v[50:51], v[197:198], -v[199:200]
	v_fma_f64 v[159:160], v[56:57], v[205:206], v[247:248]
	v_fma_f64 v[161:162], v[58:59], v[205:206], -v[207:208]
	v_add_f64 v[48:49], v[100:101], v[76:77]
	v_add_f64 v[50:51], v[102:103], v[78:79]
	;; [unrolled: 1-line block ×4, first 2 shown]
	v_fma_f64 v[155:156], v[52:53], v[201:202], v[245:246]
	v_fma_f64 v[157:158], v[54:55], v[201:202], -v[203:204]
	v_fma_f64 v[163:164], v[60:61], v[209:210], v[249:250]
	v_fma_f64 v[165:166], v[62:63], v[209:210], -v[211:212]
	;; [unrolled: 2-line block ×3, first 2 shown]
	v_add_f64 v[52:53], v[100:101], -v[76:77]
	v_add_f64 v[54:55], v[102:103], -v[78:79]
	;; [unrolled: 1-line block ×4, first 2 shown]
	v_add_f64 v[64:65], v[104:105], v[92:93]
	v_add_f64 v[66:67], v[106:107], v[94:95]
	v_add_f64 v[76:77], v[92:93], -v[104:105]
	v_add_f64 v[78:79], v[94:95], -v[106:107]
	v_add_f64 v[92:93], v[56:57], v[48:49]
	v_add_f64 v[94:95], v[58:59], v[50:51]
	v_add_f64 v[96:97], v[56:57], -v[48:49]
	v_add_f64 v[98:99], v[58:59], -v[50:51]
	;; [unrolled: 1-line block ×6, first 2 shown]
	v_add_f64 v[100:101], v[76:77], v[60:61]
	v_add_f64 v[102:103], v[78:79], v[62:63]
	v_add_f64 v[104:105], v[76:77], -v[60:61]
	v_add_f64 v[106:107], v[78:79], -v[62:63]
	v_add_f64 v[64:65], v[64:65], v[92:93]
	v_add_f64 v[66:67], v[66:67], v[94:95]
	v_add_f64 v[60:61], v[60:61], -v[52:53]
	v_add_f64 v[62:63], v[62:63], -v[54:55]
	;; [unrolled: 1-line block ×4, first 2 shown]
	v_add_f64 v[52:53], v[100:101], v[52:53]
	v_add_f64 v[54:55], v[102:103], v[54:55]
	;; [unrolled: 1-line block ×4, first 2 shown]
	v_mul_f64 v[48:49], v[48:49], s[14:15]
	v_mul_f64 v[50:51], v[50:51], s[14:15]
	;; [unrolled: 1-line block ×16, first 2 shown]
	v_fma_f64 v[64:65], v[64:65], s[6:7], v[40:41]
	v_fma_f64 v[66:67], v[66:67], s[6:7], v[42:43]
	;; [unrolled: 1-line block ×4, first 2 shown]
	v_fma_f64 v[92:93], v[96:97], s[16:17], -v[92:93]
	v_fma_f64 v[94:95], v[98:99], s[16:17], -v[94:95]
	;; [unrolled: 1-line block ×4, first 2 shown]
	v_fma_f64 v[96:97], v[76:77], s[24:25], v[100:101]
	v_fma_f64 v[98:99], v[78:79], s[24:25], v[102:103]
	v_fma_f64 v[60:61], v[60:61], s[2:3], -v[100:101]
	v_fma_f64 v[62:63], v[62:63], s[2:3], -v[102:103]
	;; [unrolled: 1-line block ×4, first 2 shown]
	v_mul_f64 v[235:236], v[86:87], v[187:188]
	v_mul_f64 v[187:188], v[84:85], v[187:188]
	;; [unrolled: 1-line block ×4, first 2 shown]
	v_fma_f64 v[80:81], v[80:81], v[173:174], v[231:232]
	v_fma_f64 v[82:83], v[82:83], v[173:174], -v[175:176]
	v_fma_f64 v[72:73], v[72:73], v[177:178], v[233:234]
	v_fma_f64 v[74:75], v[74:75], v[177:178], -v[179:180]
	;; [unrolled: 2-line block ×4, first 2 shown]
	s_waitcnt vmcnt(0)
	v_mul_f64 v[44:45], v[38:39], v[219:220]
	v_mul_f64 v[46:47], v[36:37], v[219:220]
	v_add_f64 v[100:101], v[56:57], v[64:65]
	v_add_f64 v[102:103], v[58:59], v[66:67]
	;; [unrolled: 1-line block ×6, first 2 shown]
	v_fma_f64 v[92:93], v[54:55], s[20:21], v[98:99]
	v_fma_f64 v[78:79], v[54:55], s[20:21], v[78:79]
	;; [unrolled: 1-line block ×6, first 2 shown]
	v_fma_f64 v[86:87], v[86:87], v[185:186], -v[187:188]
	v_fma_f64 v[68:69], v[68:69], v[181:182], v[237:238]
	v_fma_f64 v[70:71], v[70:71], v[181:182], -v[183:184]
	v_fma_f64 v[94:95], v[52:53], s[20:21], v[96:97]
	v_fma_f64 v[96:97], v[36:37], v[217:218], v[44:45]
	v_fma_f64 v[98:99], v[38:39], v[217:218], -v[46:47]
	v_add_f64 v[44:45], v[78:79], v[64:65]
	v_add_f64 v[46:47], v[66:67], -v[76:77]
	v_add_f64 v[48:49], v[56:57], -v[54:55]
	v_add_f64 v[50:51], v[60:61], v[58:59]
	v_add_f64 v[52:53], v[54:55], v[56:57]
	v_add_f64 v[54:55], v[58:59], -v[60:61]
	v_add_f64 v[56:57], v[64:65], -v[78:79]
	v_add_f64 v[58:59], v[76:77], v[66:67]
	v_add_f64 v[60:61], v[80:81], v[130:131]
	;; [unrolled: 1-line block ×5, first 2 shown]
	v_add_f64 v[64:65], v[80:81], -v[130:131]
	v_add_f64 v[66:67], v[82:83], -v[149:150]
	;; [unrolled: 1-line block ×4, first 2 shown]
	v_add_f64 v[80:81], v[84:85], v[68:69]
	v_add_f64 v[82:83], v[86:87], v[70:71]
	v_add_f64 v[68:69], v[68:69], -v[84:85]
	v_add_f64 v[70:71], v[70:71], -v[86:87]
	v_add_f64 v[84:85], v[76:77], v[60:61]
	v_add_f64 v[86:87], v[78:79], v[62:63]
	v_add_f64 v[88:89], v[76:77], -v[60:61]
	v_add_f64 v[90:91], v[78:79], -v[62:63]
	;; [unrolled: 1-line block ×6, first 2 shown]
	v_add_f64 v[104:105], v[68:69], v[72:73]
	v_add_f64 v[106:107], v[70:71], v[74:75]
	v_add_f64 v[108:109], v[68:69], -v[72:73]
	v_add_f64 v[110:111], v[70:71], -v[74:75]
	v_add_f64 v[80:81], v[80:81], v[84:85]
	v_add_f64 v[82:83], v[82:83], v[86:87]
	v_add_f64 v[72:73], v[72:73], -v[64:65]
	v_add_f64 v[74:75], v[74:75], -v[66:67]
	;; [unrolled: 1-line block ×4, first 2 shown]
	v_add_f64 v[64:65], v[104:105], v[64:65]
	v_add_f64 v[66:67], v[106:107], v[66:67]
	;; [unrolled: 1-line block ×4, first 2 shown]
	v_mul_f64 v[60:61], v[60:61], s[14:15]
	v_mul_f64 v[62:63], v[62:63], s[14:15]
	;; [unrolled: 1-line block ×8, first 2 shown]
	v_fma_f64 v[80:81], v[80:81], s[6:7], v[32:33]
	v_fma_f64 v[82:83], v[82:83], s[6:7], v[34:35]
	;; [unrolled: 1-line block ×4, first 2 shown]
	v_fma_f64 v[84:85], v[88:89], s[16:17], -v[84:85]
	v_fma_f64 v[86:87], v[90:91], s[16:17], -v[86:87]
	;; [unrolled: 1-line block ×4, first 2 shown]
	v_fma_f64 v[88:89], v[68:69], s[24:25], v[104:105]
	v_fma_f64 v[90:91], v[70:71], s[24:25], v[106:107]
	v_fma_f64 v[68:69], v[68:69], s[26:27], -v[108:109]
	v_fma_f64 v[70:71], v[70:71], s[26:27], -v[110:111]
	;; [unrolled: 1-line block ×4, first 2 shown]
	v_add_f64 v[104:105], v[76:77], v[80:81]
	v_add_f64 v[106:107], v[78:79], v[82:83]
	;; [unrolled: 1-line block ×6, first 2 shown]
	v_fma_f64 v[84:85], v[66:67], s[20:21], v[90:91]
	v_fma_f64 v[86:87], v[64:65], s[20:21], v[88:89]
	;; [unrolled: 1-line block ×4, first 2 shown]
	v_add_f64 v[36:37], v[92:93], v[100:101]
	v_add_f64 v[38:39], v[102:103], -v[94:95]
	v_fma_f64 v[108:109], v[66:67], s[20:21], v[74:75]
	v_fma_f64 v[110:111], v[64:65], s[20:21], v[72:73]
	v_add_f64 v[60:61], v[100:101], -v[92:93]
	v_add_f64 v[62:63], v[94:95], v[102:103]
	v_add_f64 v[68:69], v[88:89], v[80:81]
	v_add_f64 v[70:71], v[82:83], -v[90:91]
	v_add_f64 v[80:81], v[80:81], -v[88:89]
	v_add_f64 v[82:83], v[90:91], v[82:83]
	v_add_f64 v[88:89], v[151:152], v[96:97]
	;; [unrolled: 1-line block ×3, first 2 shown]
	v_add_f64 v[92:93], v[151:152], -v[96:97]
	v_add_f64 v[94:95], v[153:154], -v[98:99]
	v_add_f64 v[96:97], v[155:156], v[167:168]
	v_add_f64 v[98:99], v[157:158], v[169:170]
	v_add_f64 v[72:73], v[76:77], -v[108:109]
	v_add_f64 v[74:75], v[110:111], v[78:79]
	v_add_f64 v[76:77], v[108:109], v[76:77]
	v_add_f64 v[78:79], v[78:79], -v[110:111]
	v_add_f64 v[100:101], v[155:156], -v[167:168]
	;; [unrolled: 1-line block ×3, first 2 shown]
	v_add_f64 v[108:109], v[159:160], v[163:164]
	v_add_f64 v[110:111], v[161:162], v[165:166]
	v_add_f64 v[130:131], v[163:164], -v[159:160]
	v_add_f64 v[149:150], v[165:166], -v[161:162]
	v_add_f64 v[151:152], v[96:97], v[88:89]
	v_add_f64 v[153:154], v[98:99], v[90:91]
	v_add_f64 v[155:156], v[96:97], -v[88:89]
	v_add_f64 v[157:158], v[98:99], -v[90:91]
	;; [unrolled: 1-line block ×6, first 2 shown]
	v_add_f64 v[159:160], v[130:131], v[100:101]
	v_add_f64 v[161:162], v[149:150], v[102:103]
	v_add_f64 v[163:164], v[130:131], -v[100:101]
	v_add_f64 v[165:166], v[149:150], -v[102:103]
	v_add_f64 v[108:109], v[108:109], v[151:152]
	v_add_f64 v[110:111], v[110:111], v[153:154]
	v_add_f64 v[100:101], v[100:101], -v[92:93]
	v_add_f64 v[102:103], v[102:103], -v[94:95]
	;; [unrolled: 1-line block ×4, first 2 shown]
	v_add_f64 v[92:93], v[159:160], v[92:93]
	v_add_f64 v[94:95], v[161:162], v[94:95]
	;; [unrolled: 1-line block ×4, first 2 shown]
	v_mul_f64 v[88:89], v[88:89], s[14:15]
	v_mul_f64 v[90:91], v[90:91], s[14:15]
	;; [unrolled: 1-line block ×8, first 2 shown]
	v_fma_f64 v[108:109], v[108:109], s[6:7], v[28:29]
	v_fma_f64 v[110:111], v[110:111], s[6:7], v[30:31]
	v_fma_f64 v[96:97], v[96:97], s[8:9], v[88:89]
	v_fma_f64 v[98:99], v[98:99], s[8:9], v[90:91]
	v_fma_f64 v[151:152], v[155:156], s[16:17], -v[151:152]
	v_fma_f64 v[153:154], v[157:158], s[16:17], -v[153:154]
	;; [unrolled: 1-line block ×4, first 2 shown]
	v_fma_f64 v[155:156], v[130:131], s[24:25], v[159:160]
	v_fma_f64 v[157:158], v[149:150], s[24:25], v[161:162]
	v_fma_f64 v[100:101], v[100:101], s[2:3], -v[159:160]
	v_fma_f64 v[102:103], v[102:103], s[2:3], -v[161:162]
	;; [unrolled: 1-line block ×4, first 2 shown]
	v_add_f64 v[159:160], v[96:97], v[108:109]
	v_add_f64 v[161:162], v[98:99], v[110:111]
	;; [unrolled: 1-line block ×6, first 2 shown]
	v_fma_f64 v[157:158], v[94:95], s[20:21], v[157:158]
	v_fma_f64 v[155:156], v[92:93], s[20:21], v[155:156]
	;; [unrolled: 1-line block ×6, first 2 shown]
	v_add_f64 v[64:65], v[84:85], v[104:105]
	v_add_f64 v[66:67], v[106:107], -v[86:87]
	v_add_f64 v[84:85], v[104:105], -v[84:85]
	v_add_f64 v[86:87], v[86:87], v[106:107]
	v_add_f64 v[88:89], v[157:158], v[159:160]
	v_add_f64 v[90:91], v[161:162], -v[155:156]
	v_add_f64 v[92:93], v[149:150], v[108:109]
	v_add_f64 v[94:95], v[110:111], -v[130:131]
	v_add_f64 v[96:97], v[151:152], -v[102:103]
	v_add_f64 v[98:99], v[163:164], v[153:154]
	v_add_f64 v[100:101], v[102:103], v[151:152]
	v_add_f64 v[102:103], v[153:154], -v[163:164]
	v_add_f64 v[104:105], v[108:109], -v[149:150]
	v_add_f64 v[106:107], v[130:131], v[110:111]
	v_add_f64 v[108:109], v[159:160], -v[157:158]
	v_add_f64 v[110:111], v[155:156], v[161:162]
	ds_write_b128 v137, v[40:43]
	ds_write_b128 v137, v[36:39] offset:3456
	ds_write_b128 v137, v[44:47] offset:6912
	ds_write_b128 v137, v[48:51] offset:10368
	ds_write_b128 v137, v[52:55] offset:13824
	ds_write_b128 v137, v[56:59] offset:17280
	ds_write_b128 v137, v[60:63] offset:20736
	ds_write_b128 v143, v[32:35]
	ds_write_b128 v143, v[64:67] offset:3456
	ds_write_b128 v143, v[68:71] offset:6912
	ds_write_b128 v143, v[72:75] offset:10368
	ds_write_b128 v143, v[76:79] offset:13824
	ds_write_b128 v143, v[80:83] offset:17280
	ds_write_b128 v143, v[84:87] offset:20736
	ds_write_b128 v142, v[28:31]
	ds_write_b128 v142, v[88:91] offset:3456
	ds_write_b128 v142, v[92:95] offset:6912
	ds_write_b128 v142, v[96:99] offset:10368
	ds_write_b128 v142, v[100:103] offset:13824
	ds_write_b128 v142, v[104:107] offset:17280
	ds_write_b128 v142, v[108:111] offset:20736
	s_and_saveexec_b64 s[28:29], vcc
	s_cbranch_execz .LBB0_17
; %bb.16:
	v_subrev_u32_e32 v28, 27, v114
	v_cndmask_b32_e32 v28, v28, v128, vcc
	v_mul_i32_i24_e32 v28, 6, v28
	v_mov_b32_e32 v29, 0
	v_lshlrev_b64 v[28:29], 4, v[28:29]
	v_mov_b32_e32 v30, s13
	v_add_co_u32_e32 v52, vcc, s12, v28
	v_addc_co_u32_e32 v53, vcc, v30, v29, vcc
	global_load_dwordx4 v[28:31], v[52:53], off offset:3424
	global_load_dwordx4 v[32:35], v[52:53], off offset:3504
	;; [unrolled: 1-line block ×6, first 2 shown]
	s_waitcnt vmcnt(5)
	v_mul_f64 v[52:53], v[6:7], v[30:31]
	s_waitcnt vmcnt(4)
	v_mul_f64 v[54:55], v[26:27], v[34:35]
	;; [unrolled: 2-line block ×6, first 2 shown]
	v_mul_f64 v[34:35], v[24:25], v[34:35]
	v_mul_f64 v[30:31], v[4:5], v[30:31]
	;; [unrolled: 1-line block ×6, first 2 shown]
	v_fma_f64 v[4:5], v[4:5], v[28:29], v[52:53]
	v_fma_f64 v[24:25], v[24:25], v[32:33], v[54:55]
	v_fma_f64 v[16:17], v[16:17], v[36:37], v[56:57]
	v_fma_f64 v[12:13], v[12:13], v[40:41], v[58:59]
	v_fma_f64 v[8:9], v[8:9], v[44:45], v[60:61]
	v_fma_f64 v[20:21], v[20:21], v[48:49], v[62:63]
	v_fma_f64 v[26:27], v[26:27], v[32:33], -v[34:35]
	v_fma_f64 v[6:7], v[6:7], v[28:29], -v[30:31]
	;; [unrolled: 1-line block ×6, first 2 shown]
	v_add_f64 v[28:29], v[4:5], -v[24:25]
	v_add_f64 v[30:31], v[16:17], -v[12:13]
	;; [unrolled: 1-line block ×3, first 2 shown]
	v_add_f64 v[34:35], v[6:7], v[26:27]
	v_add_f64 v[4:5], v[4:5], v[24:25]
	;; [unrolled: 1-line block ×6, first 2 shown]
	v_add_f64 v[6:7], v[6:7], -v[26:27]
	v_add_f64 v[14:15], v[18:19], -v[14:15]
	;; [unrolled: 1-line block ×5, first 2 shown]
	v_add_f64 v[20:21], v[30:31], v[32:33]
	v_add_f64 v[22:23], v[36:37], v[34:35]
	;; [unrolled: 1-line block ×3, first 2 shown]
	v_add_f64 v[24:25], v[34:35], -v[38:39]
	v_add_f64 v[40:41], v[4:5], -v[12:13]
	;; [unrolled: 1-line block ×5, first 2 shown]
	v_add_f64 v[14:15], v[14:15], v[10:11]
	v_add_f64 v[4:5], v[8:9], -v[4:5]
	v_add_f64 v[8:9], v[10:11], -v[6:7]
	v_mul_f64 v[10:11], v[18:19], s[18:19]
	v_add_f64 v[18:19], v[20:21], v[28:29]
	v_add_f64 v[20:21], v[38:39], v[22:23]
	;; [unrolled: 1-line block ×3, first 2 shown]
	v_add_f64 v[26:27], v[38:39], -v[36:37]
	v_add_f64 v[32:33], v[32:33], -v[28:29]
	v_add_f64 v[34:35], v[36:37], -v[34:35]
	v_mul_f64 v[22:23], v[24:25], s[14:15]
	v_mul_f64 v[28:29], v[40:41], s[14:15]
	v_mul_f64 v[36:37], v[46:47], s[18:19]
	v_add_f64 v[2:3], v[2:3], v[20:21]
	v_add_f64 v[0:1], v[0:1], v[12:13]
	v_mul_f64 v[24:25], v[26:27], s[8:9]
	v_add_f64 v[6:7], v[14:15], v[6:7]
	v_mul_f64 v[14:15], v[32:33], s[2:3]
	v_mul_f64 v[38:39], v[8:9], s[2:3]
	;; [unrolled: 1-line block ×3, first 2 shown]
	v_fma_f64 v[40:41], v[16:17], s[24:25], v[10:11]
	v_fma_f64 v[26:27], v[26:27], s[8:9], v[22:23]
	v_fma_f64 v[42:43], v[42:43], s[8:9], v[28:29]
	v_fma_f64 v[46:47], v[44:45], s[24:25], v[36:37]
	v_fma_f64 v[20:21], v[20:21], s[6:7], v[2:3]
	v_fma_f64 v[12:13], v[12:13], s[6:7], v[0:1]
	v_fma_f64 v[14:15], v[16:17], s[26:27], -v[14:15]
	v_fma_f64 v[16:17], v[34:35], s[22:23], -v[22:23]
	;; [unrolled: 1-line block ×8, first 2 shown]
	v_fma_f64 v[30:31], v[18:19], s[20:21], v[40:41]
	v_fma_f64 v[32:33], v[6:7], s[20:21], v[46:47]
	v_add_f64 v[26:27], v[26:27], v[20:21]
	v_add_f64 v[36:37], v[42:43], v[12:13]
	v_fma_f64 v[34:35], v[18:19], s[20:21], v[14:15]
	v_fma_f64 v[18:19], v[18:19], s[20:21], v[10:11]
	v_add_f64 v[16:17], v[16:17], v[20:21]
	v_add_f64 v[20:21], v[24:25], v[20:21]
	v_fma_f64 v[28:29], v[6:7], s[20:21], v[28:29]
	v_add_f64 v[38:39], v[22:23], v[12:13]
	v_fma_f64 v[8:9], v[6:7], s[20:21], v[8:9]
	v_add_f64 v[4:5], v[4:5], v[12:13]
	v_add_f64 v[6:7], v[30:31], v[26:27]
	v_add_f64 v[26:27], v[26:27], -v[30:31]
	v_add_f64 v[24:25], v[32:33], v[36:37]
	v_add_f64 v[14:15], v[20:21], -v[18:19]
	;; [unrolled: 2-line block ×3, first 2 shown]
	v_add_f64 v[20:21], v[28:29], v[38:39]
	v_add_f64 v[10:11], v[34:35], v[16:17]
	v_add_f64 v[16:17], v[4:5], -v[8:9]
	v_add_f64 v[12:13], v[8:9], v[4:5]
	v_add_f64 v[8:9], v[38:39], -v[28:29]
	v_add_f64 v[4:5], v[36:37], -v[32:33]
	ds_write_b128 v137, v[0:3] offset:3024
	ds_write_b128 v137, v[24:27] offset:6480
	;; [unrolled: 1-line block ×7, first 2 shown]
.LBB0_17:
	s_or_b64 exec, exec, s[28:29]
	s_waitcnt lgkmcnt(0)
	; wave barrier
	s_waitcnt lgkmcnt(0)
	ds_read_b128 v[4:7], v137
	s_add_u32 s6, s12, 0x5e60
	s_addc_u32 s7, s13, 0
	v_sub_u32_e32 v10, 0, v115
	v_cmp_ne_u32_e32 vcc, 0, v114
                                        ; implicit-def: $vgpr2_vgpr3
                                        ; implicit-def: $vgpr8_vgpr9
	s_and_saveexec_b64 s[2:3], vcc
	s_xor_b64 s[2:3], exec, s[2:3]
	s_cbranch_execz .LBB0_19
; %bb.18:
	v_mov_b32_e32 v115, 0
	v_lshlrev_b64 v[0:1], 4, v[114:115]
	v_mov_b32_e32 v2, s7
	v_add_co_u32_e32 v0, vcc, s6, v0
	v_addc_co_u32_e32 v1, vcc, v2, v1, vcc
	global_load_dwordx4 v[11:14], v[0:1], off
	ds_read_b128 v[0:3], v10 offset:24192
	s_waitcnt lgkmcnt(0)
	v_add_f64 v[8:9], v[4:5], -v[0:1]
	v_add_f64 v[15:16], v[6:7], v[2:3]
	v_add_f64 v[2:3], v[6:7], -v[2:3]
	v_add_f64 v[0:1], v[4:5], v[0:1]
	v_mul_f64 v[6:7], v[8:9], 0.5
	v_mul_f64 v[4:5], v[15:16], 0.5
	;; [unrolled: 1-line block ×3, first 2 shown]
	s_waitcnt vmcnt(0)
	v_mul_f64 v[8:9], v[6:7], v[13:14]
	v_fma_f64 v[15:16], v[4:5], v[13:14], v[2:3]
	v_fma_f64 v[2:3], v[4:5], v[13:14], -v[2:3]
	v_fma_f64 v[17:18], v[0:1], 0.5, v[8:9]
	v_fma_f64 v[0:1], v[0:1], 0.5, -v[8:9]
	v_fma_f64 v[8:9], -v[11:12], v[6:7], v[15:16]
	v_fma_f64 v[2:3], -v[11:12], v[6:7], v[2:3]
	v_fma_f64 v[13:14], v[4:5], v[11:12], v[17:18]
	v_fma_f64 v[0:1], -v[4:5], v[11:12], v[0:1]
                                        ; implicit-def: $vgpr4_vgpr5
	ds_write_b64 v137, v[13:14]
.LBB0_19:
	s_or_saveexec_b64 s[2:3], s[2:3]
	v_sub_u32_e32 v16, 0, v119
	v_sub_u32_e32 v15, 0, v145
	;; [unrolled: 1-line block ×6, first 2 shown]
	s_xor_b64 exec, exec, s[2:3]
	s_cbranch_execz .LBB0_21
; %bb.20:
	s_waitcnt lgkmcnt(0)
	v_add_f64 v[2:3], v[4:5], v[6:7]
	v_mov_b32_e32 v19, 0
	ds_read_b64 v[17:18], v19 offset:12104
	v_add_f64 v[0:1], v[4:5], -v[6:7]
	v_mov_b32_e32 v8, 0
	v_mov_b32_e32 v9, 0
	s_waitcnt lgkmcnt(0)
	v_xor_b32_e32 v18, 0x80000000, v18
	ds_write_b64 v19, v[17:18] offset:12104
	ds_write_b64 v137, v[2:3]
	v_mov_b32_e32 v2, v8
	v_mov_b32_e32 v3, v9
.LBB0_21:
	s_or_b64 exec, exec, s[2:3]
	v_mov_b32_e32 v119, 0
	s_waitcnt lgkmcnt(0)
	v_lshlrev_b64 v[4:5], 4, v[118:119]
	v_mov_b32_e32 v6, s7
	v_add_co_u32_e32 v4, vcc, s6, v4
	v_addc_co_u32_e32 v5, vcc, v6, v5, vcc
	global_load_dwordx4 v[4:7], v[4:5], off
	v_mov_b32_e32 v130, v119
	v_lshlrev_b64 v[17:18], 4, v[129:130]
	v_mov_b32_e32 v19, s7
	v_add_co_u32_e32 v17, vcc, s6, v17
	v_addc_co_u32_e32 v18, vcc, v19, v18, vcc
	global_load_dwordx4 v[17:20], v[17:18], off
	ds_write_b64 v137, v[8:9] offset:8
	ds_write_b128 v10, v[0:3] offset:24192
	ds_read_b128 v[0:3], v143
	ds_read_b128 v[21:24], v10 offset:23184
	v_mov_b32_e32 v129, v119
	v_mov_b32_e32 v33, s7
	v_add_u32_e32 v15, v136, v15
	v_add_u32_e32 v12, v133, v12
	s_waitcnt lgkmcnt(0)
	v_add_f64 v[8:9], v[0:1], -v[21:22]
	v_add_f64 v[25:26], v[2:3], v[23:24]
	v_add_f64 v[2:3], v[2:3], -v[23:24]
	v_add_f64 v[0:1], v[0:1], v[21:22]
	v_lshlrev_b64 v[21:22], 4, v[128:129]
	v_mov_b32_e32 v128, v119
	v_mul_f64 v[23:24], v[8:9], 0.5
	v_mul_f64 v[25:26], v[25:26], 0.5
	;; [unrolled: 1-line block ×3, first 2 shown]
	s_waitcnt vmcnt(1)
	v_mul_f64 v[8:9], v[23:24], v[6:7]
	v_fma_f64 v[27:28], v[25:26], v[6:7], v[2:3]
	v_fma_f64 v[6:7], v[25:26], v[6:7], -v[2:3]
	v_fma_f64 v[29:30], v[0:1], 0.5, v[8:9]
	v_fma_f64 v[31:32], v[0:1], 0.5, -v[8:9]
	v_add_co_u32_e32 v0, vcc, s6, v21
	v_addc_co_u32_e32 v1, vcc, v33, v22, vcc
	global_load_dwordx4 v[0:3], v[0:1], off
	v_fma_f64 v[8:9], -v[4:5], v[23:24], v[27:28]
	v_fma_f64 v[23:24], -v[4:5], v[23:24], v[6:7]
	v_fma_f64 v[6:7], v[25:26], v[4:5], v[29:30]
	v_fma_f64 v[21:22], -v[25:26], v[4:5], v[31:32]
	ds_write_b128 v143, v[6:9]
	ds_write_b128 v10, v[21:24] offset:23184
	ds_read_b128 v[4:7], v142
	ds_read_b128 v[21:24], v10 offset:22176
	s_waitcnt lgkmcnt(0)
	v_add_f64 v[8:9], v[4:5], -v[21:22]
	v_add_f64 v[25:26], v[6:7], v[23:24]
	v_add_f64 v[6:7], v[6:7], -v[23:24]
	v_add_f64 v[4:5], v[4:5], v[21:22]
	v_mul_f64 v[8:9], v[8:9], 0.5
	v_mul_f64 v[23:24], v[25:26], 0.5
	;; [unrolled: 1-line block ×3, first 2 shown]
	v_lshlrev_b64 v[25:26], 4, v[127:128]
	v_mov_b32_e32 v127, v119
	s_waitcnt vmcnt(1)
	v_mul_f64 v[21:22], v[8:9], v[19:20]
	v_fma_f64 v[27:28], v[23:24], v[19:20], v[6:7]
	v_fma_f64 v[19:20], v[23:24], v[19:20], -v[6:7]
	v_fma_f64 v[29:30], v[4:5], 0.5, v[21:22]
	v_fma_f64 v[31:32], v[4:5], 0.5, -v[21:22]
	v_add_co_u32_e32 v4, vcc, s6, v25
	v_addc_co_u32_e32 v5, vcc, v33, v26, vcc
	global_load_dwordx4 v[4:7], v[4:5], off
	v_fma_f64 v[21:22], -v[17:18], v[8:9], v[27:28]
	v_fma_f64 v[25:26], -v[17:18], v[8:9], v[19:20]
	v_fma_f64 v[19:20], v[23:24], v[17:18], v[29:30]
	v_fma_f64 v[23:24], -v[23:24], v[17:18], v[31:32]
	ds_write_b128 v142, v[19:22]
	ds_write_b128 v10, v[23:26] offset:22176
	ds_read_b128 v[17:20], v141
	ds_read_b128 v[21:24], v10 offset:21168
	s_waitcnt lgkmcnt(0)
	v_add_f64 v[8:9], v[17:18], -v[21:22]
	v_add_f64 v[25:26], v[19:20], v[23:24]
	v_add_f64 v[19:20], v[19:20], -v[23:24]
	v_add_f64 v[17:18], v[17:18], v[21:22]
	v_lshlrev_b64 v[23:24], 4, v[126:127]
	v_mov_b32_e32 v126, v119
	v_mul_f64 v[8:9], v[8:9], 0.5
	v_mul_f64 v[25:26], v[25:26], 0.5
	;; [unrolled: 1-line block ×3, first 2 shown]
	s_waitcnt vmcnt(1)
	v_mul_f64 v[21:22], v[8:9], v[2:3]
	v_fma_f64 v[27:28], v[25:26], v[2:3], v[19:20]
	v_fma_f64 v[2:3], v[25:26], v[2:3], -v[19:20]
	v_fma_f64 v[29:30], v[17:18], 0.5, v[21:22]
	v_fma_f64 v[31:32], v[17:18], 0.5, -v[21:22]
	v_add_co_u32_e32 v17, vcc, s6, v23
	v_addc_co_u32_e32 v18, vcc, v33, v24, vcc
	global_load_dwordx4 v[17:20], v[17:18], off
	v_fma_f64 v[23:24], -v[0:1], v[8:9], v[27:28]
	v_fma_f64 v[21:22], v[25:26], v[0:1], v[29:30]
	v_fma_f64 v[2:3], -v[0:1], v[8:9], v[2:3]
	v_fma_f64 v[0:1], -v[25:26], v[0:1], v[31:32]
	ds_write_b128 v141, v[21:24]
	ds_write_b128 v10, v[0:3] offset:21168
	ds_read_b128 v[0:3], v140
	ds_read_b128 v[21:24], v10 offset:20160
	s_waitcnt lgkmcnt(0)
	v_add_f64 v[8:9], v[0:1], -v[21:22]
	v_add_f64 v[25:26], v[2:3], v[23:24]
	v_add_f64 v[2:3], v[2:3], -v[23:24]
	v_add_f64 v[0:1], v[0:1], v[21:22]
	v_lshlrev_b64 v[21:22], 4, v[125:126]
	v_mov_b32_e32 v125, v119
	v_mul_f64 v[23:24], v[8:9], 0.5
	v_mul_f64 v[25:26], v[25:26], 0.5
	;; [unrolled: 1-line block ×3, first 2 shown]
	s_waitcnt vmcnt(1)
	v_mul_f64 v[8:9], v[23:24], v[6:7]
	v_fma_f64 v[27:28], v[25:26], v[6:7], v[2:3]
	v_fma_f64 v[6:7], v[25:26], v[6:7], -v[2:3]
	v_fma_f64 v[29:30], v[0:1], 0.5, v[8:9]
	v_fma_f64 v[31:32], v[0:1], 0.5, -v[8:9]
	v_add_co_u32_e32 v0, vcc, s6, v21
	v_addc_co_u32_e32 v1, vcc, v33, v22, vcc
	global_load_dwordx4 v[0:3], v[0:1], off
	v_fma_f64 v[8:9], -v[4:5], v[23:24], v[27:28]
	v_fma_f64 v[23:24], -v[4:5], v[23:24], v[6:7]
	v_fma_f64 v[6:7], v[25:26], v[4:5], v[29:30]
	v_fma_f64 v[21:22], -v[25:26], v[4:5], v[31:32]
	ds_write_b128 v140, v[6:9]
	ds_write_b128 v10, v[21:24] offset:20160
	ds_read_b128 v[4:7], v139
	ds_read_b128 v[21:24], v10 offset:19152
	s_waitcnt lgkmcnt(0)
	v_add_f64 v[8:9], v[4:5], -v[21:22]
	v_add_f64 v[25:26], v[6:7], v[23:24]
	v_add_f64 v[6:7], v[6:7], -v[23:24]
	v_add_f64 v[4:5], v[4:5], v[21:22]
	v_mul_f64 v[8:9], v[8:9], 0.5
	v_mul_f64 v[23:24], v[25:26], 0.5
	;; [unrolled: 1-line block ×3, first 2 shown]
	v_lshlrev_b64 v[25:26], 4, v[124:125]
	v_mov_b32_e32 v124, v119
	s_waitcnt vmcnt(1)
	v_mul_f64 v[21:22], v[8:9], v[19:20]
	v_fma_f64 v[27:28], v[23:24], v[19:20], v[6:7]
	v_fma_f64 v[19:20], v[23:24], v[19:20], -v[6:7]
	v_fma_f64 v[29:30], v[4:5], 0.5, v[21:22]
	v_fma_f64 v[31:32], v[4:5], 0.5, -v[21:22]
	v_add_co_u32_e32 v4, vcc, s6, v25
	v_addc_co_u32_e32 v5, vcc, v33, v26, vcc
	global_load_dwordx4 v[4:7], v[4:5], off
	v_fma_f64 v[21:22], -v[17:18], v[8:9], v[27:28]
	v_fma_f64 v[25:26], -v[17:18], v[8:9], v[19:20]
	v_fma_f64 v[19:20], v[23:24], v[17:18], v[29:30]
	v_fma_f64 v[23:24], -v[23:24], v[17:18], v[31:32]
	v_add_u32_e32 v32, v138, v16
	ds_write_b128 v139, v[19:22]
	ds_write_b128 v10, v[23:26] offset:19152
	ds_read_b128 v[16:19], v32
	ds_read_b128 v[20:23], v10 offset:18144
	s_waitcnt lgkmcnt(0)
	v_add_f64 v[8:9], v[16:17], -v[20:21]
	v_add_f64 v[24:25], v[18:19], v[22:23]
	v_add_f64 v[18:19], v[18:19], -v[22:23]
	v_add_f64 v[16:17], v[16:17], v[20:21]
	v_lshlrev_b64 v[22:23], 4, v[123:124]
	v_mov_b32_e32 v123, v119
	v_mul_f64 v[8:9], v[8:9], 0.5
	v_mul_f64 v[24:25], v[24:25], 0.5
	;; [unrolled: 1-line block ×3, first 2 shown]
	s_waitcnt vmcnt(1)
	v_mul_f64 v[20:21], v[8:9], v[2:3]
	v_fma_f64 v[26:27], v[24:25], v[2:3], v[18:19]
	v_fma_f64 v[2:3], v[24:25], v[2:3], -v[18:19]
	v_fma_f64 v[28:29], v[16:17], 0.5, v[20:21]
	v_fma_f64 v[30:31], v[16:17], 0.5, -v[20:21]
	v_add_co_u32_e32 v16, vcc, s6, v22
	v_addc_co_u32_e32 v17, vcc, v33, v23, vcc
	global_load_dwordx4 v[16:19], v[16:17], off
	v_fma_f64 v[22:23], -v[0:1], v[8:9], v[26:27]
	v_fma_f64 v[20:21], v[24:25], v[0:1], v[28:29]
	v_fma_f64 v[2:3], -v[0:1], v[8:9], v[2:3]
	v_fma_f64 v[0:1], -v[24:25], v[0:1], v[30:31]
	ds_write_b128 v32, v[20:23]
	ds_write_b128 v10, v[0:3] offset:18144
	ds_read_b128 v[0:3], v15
	ds_read_b128 v[20:23], v10 offset:17136
	v_mov_b32_e32 v32, s7
	s_waitcnt lgkmcnt(0)
	v_add_f64 v[8:9], v[0:1], -v[20:21]
	v_add_f64 v[24:25], v[2:3], v[22:23]
	v_add_f64 v[2:3], v[2:3], -v[22:23]
	v_add_f64 v[0:1], v[0:1], v[20:21]
	v_lshlrev_b64 v[20:21], 4, v[122:123]
	v_mov_b32_e32 v122, v119
	v_mul_f64 v[22:23], v[8:9], 0.5
	v_mul_f64 v[24:25], v[24:25], 0.5
	;; [unrolled: 1-line block ×3, first 2 shown]
	s_waitcnt vmcnt(1)
	v_mul_f64 v[8:9], v[22:23], v[6:7]
	v_fma_f64 v[26:27], v[24:25], v[6:7], v[2:3]
	v_fma_f64 v[6:7], v[24:25], v[6:7], -v[2:3]
	v_fma_f64 v[28:29], v[0:1], 0.5, v[8:9]
	v_fma_f64 v[30:31], v[0:1], 0.5, -v[8:9]
	v_add_co_u32_e32 v0, vcc, s6, v20
	v_addc_co_u32_e32 v1, vcc, v32, v21, vcc
	global_load_dwordx4 v[0:3], v[0:1], off
	v_fma_f64 v[8:9], -v[4:5], v[22:23], v[26:27]
	v_fma_f64 v[22:23], -v[4:5], v[22:23], v[6:7]
	v_fma_f64 v[6:7], v[24:25], v[4:5], v[28:29]
	v_fma_f64 v[20:21], -v[24:25], v[4:5], v[30:31]
	v_add_u32_e32 v30, v135, v14
	ds_write_b128 v15, v[6:9]
	ds_write_b128 v10, v[20:23] offset:17136
	ds_read_b128 v[4:7], v30
	ds_read_b128 v[20:23], v10 offset:16128
	v_mov_b32_e32 v31, s7
	s_waitcnt lgkmcnt(0)
	v_add_f64 v[8:9], v[4:5], -v[20:21]
	v_add_f64 v[14:15], v[6:7], v[22:23]
	v_add_f64 v[6:7], v[6:7], -v[22:23]
	v_add_f64 v[4:5], v[4:5], v[20:21]
	v_lshlrev_b64 v[22:23], 4, v[121:122]
	v_mov_b32_e32 v121, v119
	v_mul_f64 v[8:9], v[8:9], 0.5
	v_mul_f64 v[14:15], v[14:15], 0.5
	;; [unrolled: 1-line block ×3, first 2 shown]
	s_waitcnt vmcnt(1)
	v_mul_f64 v[20:21], v[8:9], v[18:19]
	v_fma_f64 v[24:25], v[14:15], v[18:19], v[6:7]
	v_fma_f64 v[18:19], v[14:15], v[18:19], -v[6:7]
	v_fma_f64 v[26:27], v[4:5], 0.5, v[20:21]
	v_fma_f64 v[28:29], v[4:5], 0.5, -v[20:21]
	v_add_co_u32_e32 v4, vcc, s6, v22
	v_addc_co_u32_e32 v5, vcc, v31, v23, vcc
	global_load_dwordx4 v[4:7], v[4:5], off
	v_fma_f64 v[20:21], -v[16:17], v[8:9], v[24:25]
	v_fma_f64 v[24:25], -v[16:17], v[8:9], v[18:19]
	v_fma_f64 v[18:19], v[14:15], v[16:17], v[26:27]
	v_fma_f64 v[22:23], -v[14:15], v[16:17], v[28:29]
	v_add_u32_e32 v29, v134, v13
	ds_write_b128 v30, v[18:21]
	ds_write_b128 v10, v[22:25] offset:16128
	ds_read_b128 v[13:16], v29
	ds_read_b128 v[17:20], v10 offset:15120
	v_mov_b32_e32 v30, s7
	s_waitcnt lgkmcnt(0)
	v_add_f64 v[8:9], v[13:14], -v[17:18]
	v_add_f64 v[21:22], v[15:16], v[19:20]
	v_add_f64 v[15:16], v[15:16], -v[19:20]
	v_add_f64 v[13:14], v[13:14], v[17:18]
	v_lshlrev_b64 v[19:20], 4, v[120:121]
	v_mul_f64 v[8:9], v[8:9], 0.5
	v_mul_f64 v[21:22], v[21:22], 0.5
	;; [unrolled: 1-line block ×3, first 2 shown]
	s_waitcnt vmcnt(1)
	v_mul_f64 v[17:18], v[8:9], v[2:3]
	v_fma_f64 v[23:24], v[21:22], v[2:3], v[15:16]
	v_fma_f64 v[2:3], v[21:22], v[2:3], -v[15:16]
	v_fma_f64 v[25:26], v[13:14], 0.5, v[17:18]
	v_fma_f64 v[27:28], v[13:14], 0.5, -v[17:18]
	v_add_co_u32_e32 v13, vcc, s6, v19
	v_addc_co_u32_e32 v14, vcc, v30, v20, vcc
	global_load_dwordx4 v[13:16], v[13:14], off
	v_fma_f64 v[19:20], -v[0:1], v[8:9], v[23:24]
	v_fma_f64 v[17:18], v[21:22], v[0:1], v[25:26]
	v_fma_f64 v[2:3], -v[0:1], v[8:9], v[2:3]
	v_fma_f64 v[0:1], -v[21:22], v[0:1], v[27:28]
	ds_write_b128 v29, v[17:20]
	ds_write_b128 v10, v[0:3] offset:15120
	ds_read_b128 v[0:3], v12
	ds_read_b128 v[17:20], v10 offset:14112
	s_waitcnt lgkmcnt(0)
	v_add_f64 v[8:9], v[0:1], -v[17:18]
	v_add_f64 v[21:22], v[2:3], v[19:20]
	v_add_f64 v[2:3], v[2:3], -v[19:20]
	v_add_f64 v[0:1], v[0:1], v[17:18]
	v_mul_f64 v[8:9], v[8:9], 0.5
	v_mul_f64 v[19:20], v[21:22], 0.5
	;; [unrolled: 1-line block ×3, first 2 shown]
	s_waitcnt vmcnt(1)
	v_mul_f64 v[17:18], v[8:9], v[6:7]
	v_fma_f64 v[21:22], v[19:20], v[6:7], v[2:3]
	v_fma_f64 v[6:7], v[19:20], v[6:7], -v[2:3]
	v_fma_f64 v[23:24], v[0:1], 0.5, v[17:18]
	v_fma_f64 v[17:18], v[0:1], 0.5, -v[17:18]
	v_fma_f64 v[2:3], -v[4:5], v[8:9], v[21:22]
	v_fma_f64 v[6:7], -v[4:5], v[8:9], v[6:7]
	v_fma_f64 v[0:1], v[19:20], v[4:5], v[23:24]
	v_fma_f64 v[4:5], -v[19:20], v[4:5], v[17:18]
	v_add_u32_e32 v19, v132, v11
	ds_write_b128 v12, v[0:3]
	ds_write_b128 v10, v[4:7] offset:14112
	ds_read_b128 v[0:3], v19
	ds_read_b128 v[4:7], v10 offset:13104
	s_waitcnt lgkmcnt(0)
	v_add_f64 v[8:9], v[0:1], -v[4:5]
	v_add_f64 v[11:12], v[2:3], v[6:7]
	v_add_f64 v[2:3], v[2:3], -v[6:7]
	v_add_f64 v[0:1], v[0:1], v[4:5]
	v_mul_f64 v[6:7], v[8:9], 0.5
	v_mul_f64 v[8:9], v[11:12], 0.5
	;; [unrolled: 1-line block ×3, first 2 shown]
	s_waitcnt vmcnt(0)
	v_mul_f64 v[4:5], v[6:7], v[15:16]
	v_fma_f64 v[11:12], v[8:9], v[15:16], v[2:3]
	v_fma_f64 v[15:16], v[8:9], v[15:16], -v[2:3]
	v_fma_f64 v[17:18], v[0:1], 0.5, v[4:5]
	v_fma_f64 v[4:5], v[0:1], 0.5, -v[4:5]
	v_fma_f64 v[2:3], -v[13:14], v[6:7], v[11:12]
	v_fma_f64 v[6:7], -v[13:14], v[6:7], v[15:16]
	v_fma_f64 v[0:1], v[8:9], v[13:14], v[17:18]
	v_fma_f64 v[4:5], -v[8:9], v[13:14], v[4:5]
	ds_write_b128 v19, v[0:3]
	ds_write_b128 v10, v[4:7] offset:13104
	s_waitcnt lgkmcnt(0)
	; wave barrier
	s_waitcnt lgkmcnt(0)
	s_and_saveexec_b64 s[2:3], s[0:1]
	s_cbranch_execz .LBB0_24
; %bb.22:
	v_mul_lo_u32 v2, s5, v116
	v_mul_lo_u32 v3, s4, v117
	v_mad_u64_u32 v[0:1], s[0:1], s4, v116, 0
	v_mov_b32_e32 v6, s11
	v_lshl_add_u32 v12, v114, 4, 0
	v_add3_u32 v1, v1, v3, v2
	v_lshlrev_b64 v[0:1], 4, v[0:1]
	v_mov_b32_e32 v115, v119
	v_add_co_u32_e32 v0, vcc, s10, v0
	v_addc_co_u32_e32 v8, vcc, v6, v1, vcc
	v_lshlrev_b64 v[6:7], 4, v[112:113]
	ds_read_b128 v[2:5], v12
	v_add_co_u32_e32 v1, vcc, v0, v6
	v_addc_co_u32_e32 v0, vcc, v8, v7, vcc
	v_lshlrev_b64 v[6:7], 4, v[114:115]
	v_add_u32_e32 v118, 63, v114
	v_add_co_u32_e32 v10, vcc, v1, v6
	v_addc_co_u32_e32 v11, vcc, v0, v7, vcc
	ds_read_b128 v[6:9], v12 offset:1008
	s_waitcnt lgkmcnt(1)
	global_store_dwordx4 v[10:11], v[2:5], off
	s_nop 0
	v_lshlrev_b64 v[2:3], 4, v[118:119]
	v_add_u32_e32 v118, 0x7e, v114
	v_add_co_u32_e32 v2, vcc, v1, v2
	v_addc_co_u32_e32 v3, vcc, v0, v3, vcc
	s_waitcnt lgkmcnt(0)
	global_store_dwordx4 v[2:3], v[6:9], off
	ds_read_b128 v[2:5], v12 offset:2016
	v_lshlrev_b64 v[6:7], 4, v[118:119]
	v_add_u32_e32 v118, 0xbd, v114
	v_add_co_u32_e32 v10, vcc, v1, v6
	v_addc_co_u32_e32 v11, vcc, v0, v7, vcc
	ds_read_b128 v[6:9], v12 offset:3024
	s_waitcnt lgkmcnt(1)
	global_store_dwordx4 v[10:11], v[2:5], off
	s_nop 0
	v_lshlrev_b64 v[2:3], 4, v[118:119]
	v_add_u32_e32 v118, 0xfc, v114
	v_add_co_u32_e32 v2, vcc, v1, v2
	v_addc_co_u32_e32 v3, vcc, v0, v3, vcc
	s_waitcnt lgkmcnt(0)
	global_store_dwordx4 v[2:3], v[6:9], off
	ds_read_b128 v[2:5], v12 offset:4032
	;; [unrolled: 15-line block ×11, first 2 shown]
	v_lshlrev_b64 v[6:7], 4, v[118:119]
	v_add_u32_e32 v118, 0x5a9, v114
	v_add_co_u32_e32 v10, vcc, v1, v6
	v_addc_co_u32_e32 v11, vcc, v0, v7, vcc
	ds_read_b128 v[6:9], v12 offset:23184
	s_waitcnt lgkmcnt(1)
	global_store_dwordx4 v[10:11], v[2:5], off
	s_nop 0
	v_lshlrev_b64 v[2:3], 4, v[118:119]
	v_add_co_u32_e32 v2, vcc, v1, v2
	v_addc_co_u32_e32 v3, vcc, v0, v3, vcc
	v_cmp_eq_u32_e32 vcc, 62, v114
	s_waitcnt lgkmcnt(0)
	global_store_dwordx4 v[2:3], v[6:9], off
	s_and_b64 exec, exec, vcc
	s_cbranch_execz .LBB0_24
; %bb.23:
	v_mov_b32_e32 v2, 0
	ds_read_b128 v[2:5], v2 offset:24192
	v_add_co_u32_e32 v6, vcc, 0x5000, v1
	v_addc_co_u32_e32 v7, vcc, 0, v0, vcc
	s_waitcnt lgkmcnt(0)
	global_store_dwordx4 v[6:7], v[2:5], off offset:3712
.LBB0_24:
	s_endpgm
	.section	.rodata,"a",@progbits
	.p2align	6, 0x0
	.amdhsa_kernel fft_rtc_back_len1512_factors_2_2_2_3_3_3_7_wgs_63_tpt_63_halfLds_dp_op_CI_CI_unitstride_sbrr_R2C_dirReg
		.amdhsa_group_segment_fixed_size 0
		.amdhsa_private_segment_fixed_size 0
		.amdhsa_kernarg_size 104
		.amdhsa_user_sgpr_count 6
		.amdhsa_user_sgpr_private_segment_buffer 1
		.amdhsa_user_sgpr_dispatch_ptr 0
		.amdhsa_user_sgpr_queue_ptr 0
		.amdhsa_user_sgpr_kernarg_segment_ptr 1
		.amdhsa_user_sgpr_dispatch_id 0
		.amdhsa_user_sgpr_flat_scratch_init 0
		.amdhsa_user_sgpr_private_segment_size 0
		.amdhsa_uses_dynamic_stack 0
		.amdhsa_system_sgpr_private_segment_wavefront_offset 0
		.amdhsa_system_sgpr_workgroup_id_x 1
		.amdhsa_system_sgpr_workgroup_id_y 0
		.amdhsa_system_sgpr_workgroup_id_z 0
		.amdhsa_system_sgpr_workgroup_info 0
		.amdhsa_system_vgpr_workitem_id 0
		.amdhsa_next_free_vgpr 253
		.amdhsa_next_free_sgpr 30
		.amdhsa_reserve_vcc 1
		.amdhsa_reserve_flat_scratch 0
		.amdhsa_float_round_mode_32 0
		.amdhsa_float_round_mode_16_64 0
		.amdhsa_float_denorm_mode_32 3
		.amdhsa_float_denorm_mode_16_64 3
		.amdhsa_dx10_clamp 1
		.amdhsa_ieee_mode 1
		.amdhsa_fp16_overflow 0
		.amdhsa_exception_fp_ieee_invalid_op 0
		.amdhsa_exception_fp_denorm_src 0
		.amdhsa_exception_fp_ieee_div_zero 0
		.amdhsa_exception_fp_ieee_overflow 0
		.amdhsa_exception_fp_ieee_underflow 0
		.amdhsa_exception_fp_ieee_inexact 0
		.amdhsa_exception_int_div_zero 0
	.end_amdhsa_kernel
	.text
.Lfunc_end0:
	.size	fft_rtc_back_len1512_factors_2_2_2_3_3_3_7_wgs_63_tpt_63_halfLds_dp_op_CI_CI_unitstride_sbrr_R2C_dirReg, .Lfunc_end0-fft_rtc_back_len1512_factors_2_2_2_3_3_3_7_wgs_63_tpt_63_halfLds_dp_op_CI_CI_unitstride_sbrr_R2C_dirReg
                                        ; -- End function
	.section	.AMDGPU.csdata,"",@progbits
; Kernel info:
; codeLenInByte = 21424
; NumSgprs: 34
; NumVgprs: 253
; ScratchSize: 0
; MemoryBound: 0
; FloatMode: 240
; IeeeMode: 1
; LDSByteSize: 0 bytes/workgroup (compile time only)
; SGPRBlocks: 4
; VGPRBlocks: 63
; NumSGPRsForWavesPerEU: 34
; NumVGPRsForWavesPerEU: 253
; Occupancy: 1
; WaveLimiterHint : 1
; COMPUTE_PGM_RSRC2:SCRATCH_EN: 0
; COMPUTE_PGM_RSRC2:USER_SGPR: 6
; COMPUTE_PGM_RSRC2:TRAP_HANDLER: 0
; COMPUTE_PGM_RSRC2:TGID_X_EN: 1
; COMPUTE_PGM_RSRC2:TGID_Y_EN: 0
; COMPUTE_PGM_RSRC2:TGID_Z_EN: 0
; COMPUTE_PGM_RSRC2:TIDIG_COMP_CNT: 0
	.type	__hip_cuid_df0d457fe2444104,@object ; @__hip_cuid_df0d457fe2444104
	.section	.bss,"aw",@nobits
	.globl	__hip_cuid_df0d457fe2444104
__hip_cuid_df0d457fe2444104:
	.byte	0                               ; 0x0
	.size	__hip_cuid_df0d457fe2444104, 1

	.ident	"AMD clang version 19.0.0git (https://github.com/RadeonOpenCompute/llvm-project roc-6.4.0 25133 c7fe45cf4b819c5991fe208aaa96edf142730f1d)"
	.section	".note.GNU-stack","",@progbits
	.addrsig
	.addrsig_sym __hip_cuid_df0d457fe2444104
	.amdgpu_metadata
---
amdhsa.kernels:
  - .args:
      - .actual_access:  read_only
        .address_space:  global
        .offset:         0
        .size:           8
        .value_kind:     global_buffer
      - .offset:         8
        .size:           8
        .value_kind:     by_value
      - .actual_access:  read_only
        .address_space:  global
        .offset:         16
        .size:           8
        .value_kind:     global_buffer
      - .actual_access:  read_only
        .address_space:  global
        .offset:         24
        .size:           8
        .value_kind:     global_buffer
      - .actual_access:  read_only
        .address_space:  global
        .offset:         32
        .size:           8
        .value_kind:     global_buffer
      - .offset:         40
        .size:           8
        .value_kind:     by_value
      - .actual_access:  read_only
        .address_space:  global
        .offset:         48
        .size:           8
        .value_kind:     global_buffer
      - .actual_access:  read_only
        .address_space:  global
        .offset:         56
        .size:           8
        .value_kind:     global_buffer
      - .offset:         64
        .size:           4
        .value_kind:     by_value
      - .actual_access:  read_only
        .address_space:  global
        .offset:         72
        .size:           8
        .value_kind:     global_buffer
      - .actual_access:  read_only
        .address_space:  global
        .offset:         80
        .size:           8
        .value_kind:     global_buffer
      - .actual_access:  read_only
        .address_space:  global
        .offset:         88
        .size:           8
        .value_kind:     global_buffer
      - .actual_access:  write_only
        .address_space:  global
        .offset:         96
        .size:           8
        .value_kind:     global_buffer
    .group_segment_fixed_size: 0
    .kernarg_segment_align: 8
    .kernarg_segment_size: 104
    .language:       OpenCL C
    .language_version:
      - 2
      - 0
    .max_flat_workgroup_size: 63
    .name:           fft_rtc_back_len1512_factors_2_2_2_3_3_3_7_wgs_63_tpt_63_halfLds_dp_op_CI_CI_unitstride_sbrr_R2C_dirReg
    .private_segment_fixed_size: 0
    .sgpr_count:     34
    .sgpr_spill_count: 0
    .symbol:         fft_rtc_back_len1512_factors_2_2_2_3_3_3_7_wgs_63_tpt_63_halfLds_dp_op_CI_CI_unitstride_sbrr_R2C_dirReg.kd
    .uniform_work_group_size: 1
    .uses_dynamic_stack: false
    .vgpr_count:     253
    .vgpr_spill_count: 0
    .wavefront_size: 64
amdhsa.target:   amdgcn-amd-amdhsa--gfx906
amdhsa.version:
  - 1
  - 2
...

	.end_amdgpu_metadata
